;; amdgpu-corpus repo=ROCm/rocFFT kind=compiled arch=gfx1201 opt=O3
	.text
	.amdgcn_target "amdgcn-amd-amdhsa--gfx1201"
	.amdhsa_code_object_version 6
	.protected	fft_rtc_fwd_len1053_factors_3_3_13_3_3_wgs_117_tpt_117_halfLds_sp_op_CI_CI_sbrr_dirReg ; -- Begin function fft_rtc_fwd_len1053_factors_3_3_13_3_3_wgs_117_tpt_117_halfLds_sp_op_CI_CI_sbrr_dirReg
	.globl	fft_rtc_fwd_len1053_factors_3_3_13_3_3_wgs_117_tpt_117_halfLds_sp_op_CI_CI_sbrr_dirReg
	.p2align	8
	.type	fft_rtc_fwd_len1053_factors_3_3_13_3_3_wgs_117_tpt_117_halfLds_sp_op_CI_CI_sbrr_dirReg,@function
fft_rtc_fwd_len1053_factors_3_3_13_3_3_wgs_117_tpt_117_halfLds_sp_op_CI_CI_sbrr_dirReg: ; @fft_rtc_fwd_len1053_factors_3_3_13_3_3_wgs_117_tpt_117_halfLds_sp_op_CI_CI_sbrr_dirReg
; %bb.0:
	s_clause 0x2
	s_load_b128 s[12:15], s[0:1], 0x18
	s_load_b128 s[8:11], s[0:1], 0x0
	;; [unrolled: 1-line block ×3, first 2 shown]
	v_mul_u32_u24_e32 v1, 0x231, v0
	v_mov_b32_e32 v7, 0
	v_mov_b32_e32 v5, 0
	;; [unrolled: 1-line block ×3, first 2 shown]
	s_wait_kmcnt 0x0
	s_load_b64 s[18:19], s[12:13], 0x0
	s_load_b64 s[16:17], s[14:15], 0x0
	v_lshrrev_b32_e32 v1, 16, v1
	v_cmp_lt_u64_e64 s2, s[10:11], 2
	s_delay_alu instid0(VALU_DEP_2) | instskip(NEXT) | instid1(VALU_DEP_2)
	v_dual_mov_b32 v10, v7 :: v_dual_add_nc_u32 v9, ttmp9, v1
	s_and_b32 vcc_lo, exec_lo, s2
	s_cbranch_vccnz .LBB0_8
; %bb.1:
	s_load_b64 s[2:3], s[0:1], 0x10
	v_mov_b32_e32 v5, 0
	v_mov_b32_e32 v6, 0
	s_delay_alu instid0(VALU_DEP_2)
	v_mov_b32_e32 v1, v5
	s_add_nc_u64 s[20:21], s[14:15], 8
	s_add_nc_u64 s[22:23], s[12:13], 8
	s_mov_b64 s[24:25], 1
	v_mov_b32_e32 v2, v6
	s_wait_kmcnt 0x0
	s_add_nc_u64 s[26:27], s[2:3], 8
	s_mov_b32 s3, 0
.LBB0_2:                                ; =>This Inner Loop Header: Depth=1
	s_load_b64 s[28:29], s[26:27], 0x0
                                        ; implicit-def: $vgpr3_vgpr4
	s_mov_b32 s2, exec_lo
	s_wait_kmcnt 0x0
	v_or_b32_e32 v8, s29, v10
	s_delay_alu instid0(VALU_DEP_1)
	v_cmpx_ne_u64_e32 0, v[7:8]
	s_wait_alu 0xfffe
	s_xor_b32 s30, exec_lo, s2
	s_cbranch_execz .LBB0_4
; %bb.3:                                ;   in Loop: Header=BB0_2 Depth=1
	s_cvt_f32_u32 s2, s28
	s_cvt_f32_u32 s31, s29
	s_sub_nc_u64 s[36:37], 0, s[28:29]
	s_wait_alu 0xfffe
	s_delay_alu instid0(SALU_CYCLE_1) | instskip(SKIP_1) | instid1(SALU_CYCLE_2)
	s_fmamk_f32 s2, s31, 0x4f800000, s2
	s_wait_alu 0xfffe
	v_s_rcp_f32 s2, s2
	s_delay_alu instid0(TRANS32_DEP_1) | instskip(SKIP_1) | instid1(SALU_CYCLE_2)
	s_mul_f32 s2, s2, 0x5f7ffffc
	s_wait_alu 0xfffe
	s_mul_f32 s31, s2, 0x2f800000
	s_wait_alu 0xfffe
	s_delay_alu instid0(SALU_CYCLE_2) | instskip(SKIP_1) | instid1(SALU_CYCLE_2)
	s_trunc_f32 s31, s31
	s_wait_alu 0xfffe
	s_fmamk_f32 s2, s31, 0xcf800000, s2
	s_cvt_u32_f32 s35, s31
	s_wait_alu 0xfffe
	s_delay_alu instid0(SALU_CYCLE_1) | instskip(SKIP_1) | instid1(SALU_CYCLE_2)
	s_cvt_u32_f32 s34, s2
	s_wait_alu 0xfffe
	s_mul_u64 s[38:39], s[36:37], s[34:35]
	s_wait_alu 0xfffe
	s_mul_hi_u32 s41, s34, s39
	s_mul_i32 s40, s34, s39
	s_mul_hi_u32 s2, s34, s38
	s_mul_i32 s33, s35, s38
	s_wait_alu 0xfffe
	s_add_nc_u64 s[40:41], s[2:3], s[40:41]
	s_mul_hi_u32 s31, s35, s38
	s_mul_hi_u32 s42, s35, s39
	s_add_co_u32 s2, s40, s33
	s_wait_alu 0xfffe
	s_add_co_ci_u32 s2, s41, s31
	s_mul_i32 s38, s35, s39
	s_add_co_ci_u32 s39, s42, 0
	s_wait_alu 0xfffe
	s_add_nc_u64 s[38:39], s[2:3], s[38:39]
	s_wait_alu 0xfffe
	v_add_co_u32 v3, s2, s34, s38
	s_delay_alu instid0(VALU_DEP_1) | instskip(SKIP_1) | instid1(VALU_DEP_1)
	s_cmp_lg_u32 s2, 0
	s_add_co_ci_u32 s35, s35, s39
	v_readfirstlane_b32 s34, v3
	s_wait_alu 0xfffe
	s_delay_alu instid0(VALU_DEP_1)
	s_mul_u64 s[36:37], s[36:37], s[34:35]
	s_wait_alu 0xfffe
	s_mul_hi_u32 s39, s34, s37
	s_mul_i32 s38, s34, s37
	s_mul_hi_u32 s2, s34, s36
	s_mul_i32 s33, s35, s36
	s_wait_alu 0xfffe
	s_add_nc_u64 s[38:39], s[2:3], s[38:39]
	s_mul_hi_u32 s31, s35, s36
	s_mul_hi_u32 s34, s35, s37
	s_wait_alu 0xfffe
	s_add_co_u32 s2, s38, s33
	s_add_co_ci_u32 s2, s39, s31
	s_mul_i32 s36, s35, s37
	s_add_co_ci_u32 s37, s34, 0
	s_wait_alu 0xfffe
	s_add_nc_u64 s[36:37], s[2:3], s[36:37]
	s_wait_alu 0xfffe
	v_add_co_u32 v8, s2, v3, s36
	s_delay_alu instid0(VALU_DEP_1) | instskip(SKIP_1) | instid1(VALU_DEP_1)
	s_cmp_lg_u32 s2, 0
	s_add_co_ci_u32 s2, s35, s37
	v_mul_hi_u32 v15, v9, v8
	s_wait_alu 0xfffe
	v_mad_co_u64_u32 v[3:4], null, v9, s2, 0
	v_mad_co_u64_u32 v[11:12], null, v10, v8, 0
	;; [unrolled: 1-line block ×3, first 2 shown]
	s_delay_alu instid0(VALU_DEP_3) | instskip(SKIP_1) | instid1(VALU_DEP_4)
	v_add_co_u32 v3, vcc_lo, v15, v3
	s_wait_alu 0xfffd
	v_add_co_ci_u32_e32 v4, vcc_lo, 0, v4, vcc_lo
	s_delay_alu instid0(VALU_DEP_2) | instskip(SKIP_1) | instid1(VALU_DEP_2)
	v_add_co_u32 v3, vcc_lo, v3, v11
	s_wait_alu 0xfffd
	v_add_co_ci_u32_e32 v3, vcc_lo, v4, v12, vcc_lo
	s_wait_alu 0xfffd
	v_add_co_ci_u32_e32 v4, vcc_lo, 0, v14, vcc_lo
	s_delay_alu instid0(VALU_DEP_2) | instskip(SKIP_1) | instid1(VALU_DEP_2)
	v_add_co_u32 v8, vcc_lo, v3, v13
	s_wait_alu 0xfffd
	v_add_co_ci_u32_e32 v11, vcc_lo, 0, v4, vcc_lo
	s_delay_alu instid0(VALU_DEP_2) | instskip(SKIP_1) | instid1(VALU_DEP_3)
	v_mul_lo_u32 v12, s29, v8
	v_mad_co_u64_u32 v[3:4], null, s28, v8, 0
	v_mul_lo_u32 v13, s28, v11
	s_delay_alu instid0(VALU_DEP_2) | instskip(NEXT) | instid1(VALU_DEP_2)
	v_sub_co_u32 v3, vcc_lo, v9, v3
	v_add3_u32 v4, v4, v13, v12
	s_delay_alu instid0(VALU_DEP_1) | instskip(SKIP_1) | instid1(VALU_DEP_1)
	v_sub_nc_u32_e32 v12, v10, v4
	s_wait_alu 0xfffd
	v_subrev_co_ci_u32_e64 v12, s2, s29, v12, vcc_lo
	v_add_co_u32 v13, s2, v8, 2
	s_wait_alu 0xf1ff
	v_add_co_ci_u32_e64 v14, s2, 0, v11, s2
	v_sub_co_u32 v15, s2, v3, s28
	v_sub_co_ci_u32_e32 v4, vcc_lo, v10, v4, vcc_lo
	s_wait_alu 0xf1ff
	v_subrev_co_ci_u32_e64 v12, s2, 0, v12, s2
	s_delay_alu instid0(VALU_DEP_3) | instskip(NEXT) | instid1(VALU_DEP_3)
	v_cmp_le_u32_e32 vcc_lo, s28, v15
	v_cmp_eq_u32_e64 s2, s29, v4
	s_wait_alu 0xfffd
	v_cndmask_b32_e64 v15, 0, -1, vcc_lo
	v_cmp_le_u32_e32 vcc_lo, s29, v12
	s_wait_alu 0xfffd
	v_cndmask_b32_e64 v16, 0, -1, vcc_lo
	v_cmp_le_u32_e32 vcc_lo, s28, v3
	;; [unrolled: 3-line block ×3, first 2 shown]
	s_wait_alu 0xfffd
	v_cndmask_b32_e64 v17, 0, -1, vcc_lo
	v_cmp_eq_u32_e32 vcc_lo, s29, v12
	s_wait_alu 0xf1ff
	s_delay_alu instid0(VALU_DEP_2)
	v_cndmask_b32_e64 v3, v17, v3, s2
	s_wait_alu 0xfffd
	v_cndmask_b32_e32 v12, v16, v15, vcc_lo
	v_add_co_u32 v15, vcc_lo, v8, 1
	s_wait_alu 0xfffd
	v_add_co_ci_u32_e32 v16, vcc_lo, 0, v11, vcc_lo
	s_delay_alu instid0(VALU_DEP_3) | instskip(SKIP_1) | instid1(VALU_DEP_2)
	v_cmp_ne_u32_e32 vcc_lo, 0, v12
	s_wait_alu 0xfffd
	v_cndmask_b32_e32 v4, v16, v14, vcc_lo
	v_cndmask_b32_e32 v12, v15, v13, vcc_lo
	v_cmp_ne_u32_e32 vcc_lo, 0, v3
	s_wait_alu 0xfffd
	s_delay_alu instid0(VALU_DEP_3) | instskip(NEXT) | instid1(VALU_DEP_3)
	v_cndmask_b32_e32 v4, v11, v4, vcc_lo
	v_cndmask_b32_e32 v3, v8, v12, vcc_lo
.LBB0_4:                                ;   in Loop: Header=BB0_2 Depth=1
	s_wait_alu 0xfffe
	s_and_not1_saveexec_b32 s2, s30
	s_cbranch_execz .LBB0_6
; %bb.5:                                ;   in Loop: Header=BB0_2 Depth=1
	v_cvt_f32_u32_e32 v3, s28
	s_sub_co_i32 s30, 0, s28
	s_delay_alu instid0(VALU_DEP_1) | instskip(NEXT) | instid1(TRANS32_DEP_1)
	v_rcp_iflag_f32_e32 v3, v3
	v_mul_f32_e32 v3, 0x4f7ffffe, v3
	s_delay_alu instid0(VALU_DEP_1) | instskip(SKIP_1) | instid1(VALU_DEP_1)
	v_cvt_u32_f32_e32 v3, v3
	s_wait_alu 0xfffe
	v_mul_lo_u32 v4, s30, v3
	s_delay_alu instid0(VALU_DEP_1) | instskip(NEXT) | instid1(VALU_DEP_1)
	v_mul_hi_u32 v4, v3, v4
	v_add_nc_u32_e32 v3, v3, v4
	s_delay_alu instid0(VALU_DEP_1) | instskip(NEXT) | instid1(VALU_DEP_1)
	v_mul_hi_u32 v3, v9, v3
	v_mul_lo_u32 v4, v3, s28
	v_add_nc_u32_e32 v8, 1, v3
	s_delay_alu instid0(VALU_DEP_2) | instskip(NEXT) | instid1(VALU_DEP_1)
	v_sub_nc_u32_e32 v4, v9, v4
	v_subrev_nc_u32_e32 v11, s28, v4
	v_cmp_le_u32_e32 vcc_lo, s28, v4
	s_wait_alu 0xfffd
	s_delay_alu instid0(VALU_DEP_2) | instskip(NEXT) | instid1(VALU_DEP_1)
	v_dual_cndmask_b32 v4, v4, v11 :: v_dual_cndmask_b32 v3, v3, v8
	v_cmp_le_u32_e32 vcc_lo, s28, v4
	s_delay_alu instid0(VALU_DEP_2) | instskip(SKIP_2) | instid1(VALU_DEP_2)
	v_add_nc_u32_e32 v8, 1, v3
	v_mov_b32_e32 v4, v7
	s_wait_alu 0xfffd
	v_cndmask_b32_e32 v3, v3, v8, vcc_lo
.LBB0_6:                                ;   in Loop: Header=BB0_2 Depth=1
	s_wait_alu 0xfffe
	s_or_b32 exec_lo, exec_lo, s2
	v_mul_lo_u32 v8, v4, s28
	s_delay_alu instid0(VALU_DEP_2)
	v_mul_lo_u32 v13, v3, s29
	s_load_b64 s[30:31], s[22:23], 0x0
	v_mad_co_u64_u32 v[11:12], null, v3, s28, 0
	s_load_b64 s[28:29], s[20:21], 0x0
	s_add_nc_u64 s[24:25], s[24:25], 1
	s_add_nc_u64 s[20:21], s[20:21], 8
	s_wait_alu 0xfffe
	v_cmp_ge_u64_e64 s2, s[24:25], s[10:11]
	s_add_nc_u64 s[22:23], s[22:23], 8
	s_add_nc_u64 s[26:27], s[26:27], 8
	v_add3_u32 v8, v12, v13, v8
	v_sub_co_u32 v9, vcc_lo, v9, v11
	s_wait_alu 0xfffd
	s_delay_alu instid0(VALU_DEP_2) | instskip(SKIP_2) | instid1(VALU_DEP_1)
	v_sub_co_ci_u32_e32 v8, vcc_lo, v10, v8, vcc_lo
	s_and_b32 vcc_lo, exec_lo, s2
	s_wait_kmcnt 0x0
	v_mul_lo_u32 v10, s30, v8
	v_mul_lo_u32 v11, s31, v9
	v_mad_co_u64_u32 v[5:6], null, s30, v9, v[5:6]
	v_mul_lo_u32 v8, s28, v8
	v_mul_lo_u32 v12, s29, v9
	v_mad_co_u64_u32 v[1:2], null, s28, v9, v[1:2]
	s_delay_alu instid0(VALU_DEP_4) | instskip(NEXT) | instid1(VALU_DEP_2)
	v_add3_u32 v6, v11, v6, v10
	v_add3_u32 v2, v12, v2, v8
	s_wait_alu 0xfffe
	s_cbranch_vccnz .LBB0_9
; %bb.7:                                ;   in Loop: Header=BB0_2 Depth=1
	v_dual_mov_b32 v10, v4 :: v_dual_mov_b32 v9, v3
	s_branch .LBB0_2
.LBB0_8:
	v_dual_mov_b32 v1, v5 :: v_dual_mov_b32 v2, v6
	s_delay_alu instid0(VALU_DEP_2)
	v_dual_mov_b32 v3, v9 :: v_dual_mov_b32 v4, v10
.LBB0_9:
	s_load_b64 s[0:1], s[0:1], 0x28
	v_mul_hi_u32 v8, 0x2302303, v0
	s_lshl_b64 s[10:11], s[10:11], 3
                                        ; implicit-def: $vgpr29
                                        ; implicit-def: $vgpr30
                                        ; implicit-def: $vgpr31
	s_wait_kmcnt 0x0
	v_cmp_gt_u64_e32 vcc_lo, s[0:1], v[3:4]
	v_cmp_le_u64_e64 s0, s[0:1], v[3:4]
	s_delay_alu instid0(VALU_DEP_1)
	s_and_saveexec_b32 s1, s0
	s_wait_alu 0xfffe
	s_xor_b32 s0, exec_lo, s1
; %bb.10:
	v_mul_u32_u24_e32 v5, 0x75, v8
                                        ; implicit-def: $vgpr8
	s_delay_alu instid0(VALU_DEP_1) | instskip(NEXT) | instid1(VALU_DEP_1)
	v_sub_nc_u32_e32 v29, v0, v5
                                        ; implicit-def: $vgpr0
                                        ; implicit-def: $vgpr5_vgpr6
	v_add_nc_u32_e32 v30, 0x75, v29
	v_add_nc_u32_e32 v31, 0xea, v29
; %bb.11:
	s_wait_alu 0xfffe
	s_or_saveexec_b32 s1, s0
	s_add_nc_u64 s[2:3], s[14:15], s[10:11]
                                        ; implicit-def: $vgpr7
                                        ; implicit-def: $vgpr22
                                        ; implicit-def: $vgpr18
                                        ; implicit-def: $vgpr10
                                        ; implicit-def: $vgpr24
                                        ; implicit-def: $vgpr20
                                        ; implicit-def: $vgpr14
                                        ; implicit-def: $vgpr12
                                        ; implicit-def: $vgpr16
	s_wait_alu 0xfffe
	s_xor_b32 exec_lo, exec_lo, s1
	s_cbranch_execz .LBB0_13
; %bb.12:
	s_add_nc_u64 s[10:11], s[12:13], s[10:11]
	v_mul_u32_u24_e32 v7, 0x75, v8
	s_load_b64 s[10:11], s[10:11], 0x0
	v_lshlrev_b64_e32 v[5:6], 3, v[5:6]
	s_delay_alu instid0(VALU_DEP_2) | instskip(NEXT) | instid1(VALU_DEP_1)
	v_sub_nc_u32_e32 v29, v0, v7
	v_mad_co_u64_u32 v[7:8], null, s18, v29, 0
	v_add_nc_u32_e32 v19, 0x15f, v29
	v_add_nc_u32_e32 v20, 0x2be, v29
	;; [unrolled: 1-line block ×6, first 2 shown]
	v_mad_co_u64_u32 v[11:12], null, s18, v20, 0
	v_mad_co_u64_u32 v[13:14], null, s18, v30, 0
	v_mov_b32_e32 v0, v8
	v_mad_co_u64_u32 v[9:10], null, s18, v19, 0
	s_wait_kmcnt 0x0
	v_mul_lo_u32 v8, s11, v3
	v_mul_lo_u32 v21, s10, v4
	v_mad_co_u64_u32 v[15:16], null, s10, v3, 0
	v_mad_co_u64_u32 v[17:18], null, s19, v29, v[0:1]
	v_mov_b32_e32 v0, v10
	v_dual_mov_b32 v10, v12 :: v_dual_add_nc_u32 v31, 0xea, v29
	v_mov_b32_e32 v12, v14
	v_add3_u32 v16, v16, v21, v8
	v_mad_co_u64_u32 v[32:33], null, s18, v37, 0
	v_mov_b32_e32 v8, v17
	v_mad_co_u64_u32 v[23:24], null, s18, v31, 0
	s_delay_alu instid0(VALU_DEP_4) | instskip(SKIP_3) | instid1(VALU_DEP_4)
	v_lshlrev_b64_e32 v[14:15], 3, v[15:16]
	v_mad_co_u64_u32 v[16:17], null, s19, v30, v[12:13]
	v_add_nc_u32_e32 v17, 0x333, v29
	v_mad_co_u64_u32 v[18:19], null, s19, v19, v[0:1]
	v_add_co_u32 v0, s0, s4, v14
	v_mad_co_u64_u32 v[19:20], null, s19, v20, v[10:11]
	s_wait_alu 0xf1ff
	v_add_co_ci_u32_e64 v14, s0, s5, v15, s0
	s_delay_alu instid0(VALU_DEP_4)
	v_mov_b32_e32 v10, v18
	v_lshlrev_b64_e32 v[7:8], 3, v[7:8]
	v_add_co_u32 v34, s0, v0, v5
	s_wait_alu 0xf1ff
	v_add_co_ci_u32_e64 v35, s0, v14, v6, s0
	v_lshlrev_b64_e32 v[5:6], 3, v[9:10]
	v_mov_b32_e32 v12, v19
	v_add_co_u32 v7, s0, v34, v7
	v_mad_co_u64_u32 v[19:20], null, s18, v22, 0
	s_wait_alu 0xf1ff
	v_add_co_ci_u32_e64 v8, s0, v35, v8, s0
	v_add_co_u32 v9, s0, v34, v5
	s_wait_alu 0xf1ff
	v_add_co_ci_u32_e64 v10, s0, v35, v6, s0
	v_lshlrev_b64_e32 v[5:6], 3, v[11:12]
	v_mov_b32_e32 v14, v16
	v_mov_b32_e32 v0, v20
	v_mad_co_u64_u32 v[11:12], null, s18, v17, 0
	s_delay_alu instid0(VALU_DEP_4)
	v_add_co_u32 v15, s0, v34, v5
	s_wait_alu 0xf1ff
	v_add_co_ci_u32_e64 v16, s0, v35, v6, s0
	v_lshlrev_b64_e32 v[5:6], 3, v[13:14]
	v_mad_co_u64_u32 v[13:14], null, s19, v22, v[0:1]
	v_mov_b32_e32 v0, v12
	s_delay_alu instid0(VALU_DEP_3) | instskip(SKIP_1) | instid1(VALU_DEP_4)
	v_add_co_u32 v25, s0, v34, v5
	s_wait_alu 0xf1ff
	v_add_co_ci_u32_e64 v26, s0, v35, v6, s0
	s_delay_alu instid0(VALU_DEP_4)
	v_mov_b32_e32 v20, v13
	v_mad_co_u64_u32 v[13:14], null, s18, v36, 0
	v_mad_co_u64_u32 v[5:6], null, s19, v17, v[0:1]
	v_mov_b32_e32 v0, v24
	s_clause 0x3
	global_load_b64 v[6:7], v[7:8], off
	global_load_b64 v[21:22], v[9:10], off
	global_load_b64 v[17:18], v[15:16], off
	global_load_b64 v[9:10], v[25:26], off
	v_mad_co_u64_u32 v[27:28], null, s19, v31, v[0:1]
	v_mov_b32_e32 v0, v14
	v_lshlrev_b64_e32 v[14:15], 3, v[19:20]
	v_mov_b32_e32 v12, v5
	s_delay_alu instid0(VALU_DEP_3) | instskip(SKIP_1) | instid1(VALU_DEP_4)
	v_mad_co_u64_u32 v[19:20], null, s19, v36, v[0:1]
	v_mov_b32_e32 v0, v33
	v_add_co_u32 v25, s0, v34, v14
	s_wait_alu 0xf1ff
	v_add_co_ci_u32_e64 v26, s0, v35, v15, s0
	s_delay_alu instid0(VALU_DEP_3) | instskip(SKIP_3) | instid1(VALU_DEP_3)
	v_mad_co_u64_u32 v[15:16], null, s19, v37, v[0:1]
	v_mov_b32_e32 v24, v27
	v_lshlrev_b64_e32 v[11:12], 3, v[11:12]
	v_mov_b32_e32 v14, v19
	v_lshlrev_b64_e32 v[23:24], 3, v[23:24]
	v_mov_b32_e32 v33, v15
	s_delay_alu instid0(VALU_DEP_4) | instskip(NEXT) | instid1(VALU_DEP_4)
	v_add_co_u32 v11, s0, v34, v11
	v_lshlrev_b64_e32 v[13:14], 3, v[13:14]
	s_wait_alu 0xf1ff
	v_add_co_ci_u32_e64 v12, s0, v35, v12, s0
	v_add_co_u32 v15, s0, v34, v23
	v_lshlrev_b64_e32 v[19:20], 3, v[32:33]
	s_wait_alu 0xf1ff
	v_add_co_ci_u32_e64 v16, s0, v35, v24, s0
	v_add_co_u32 v27, s0, v34, v13
	s_wait_alu 0xf1ff
	v_add_co_ci_u32_e64 v28, s0, v35, v14, s0
	v_add_co_u32 v32, s0, v34, v19
	s_wait_alu 0xf1ff
	v_add_co_ci_u32_e64 v33, s0, v35, v20, s0
	s_clause 0x4
	global_load_b64 v[23:24], v[25:26], off
	global_load_b64 v[19:20], v[11:12], off
	global_load_b64 v[13:14], v[15:16], off
	global_load_b64 v[15:16], v[27:28], off
	global_load_b64 v[11:12], v[32:33], off
.LBB0_13:
	s_or_b32 exec_lo, exec_lo, s1
	s_wait_loadcnt 0x6
	v_dual_add_f32 v0, v21, v17 :: v_dual_add_f32 v25, v22, v18
	v_add_f32_e32 v5, v6, v21
	v_dual_sub_f32 v8, v22, v18 :: v_dual_sub_f32 v21, v21, v17
	s_delay_alu instid0(VALU_DEP_3) | instskip(NEXT) | instid1(VALU_DEP_3)
	v_fmac_f32_e32 v6, -0.5, v0
	v_dual_add_f32 v0, v7, v22 :: v_dual_add_f32 v5, v5, v17
	v_fmac_f32_e32 v7, -0.5, v25
	v_mad_u32_u24 v25, v29, 12, 0
	s_delay_alu instid0(VALU_DEP_4)
	v_fmamk_f32 v17, v8, 0x3f5db3d7, v6
	v_fmac_f32_e32 v6, 0xbf5db3d7, v8
	v_add_f32_e32 v8, v0, v18
	s_wait_loadcnt 0x3
	v_add_f32_e32 v0, v23, v19
	v_fmamk_f32 v18, v21, 0xbf5db3d7, v7
	v_dual_add_f32 v22, v9, v23 :: v_dual_fmac_f32 v7, 0x3f5db3d7, v21
	v_add_f32_e32 v21, v24, v20
	s_delay_alu instid0(VALU_DEP_4) | instskip(SKIP_1) | instid1(VALU_DEP_4)
	v_fmac_f32_e32 v9, -0.5, v0
	v_sub_f32_e32 v0, v24, v20
	v_add_f32_e32 v22, v22, v19
	v_dual_sub_f32 v19, v23, v19 :: v_dual_add_f32 v24, v10, v24
	s_delay_alu instid0(VALU_DEP_3) | instskip(SKIP_3) | instid1(VALU_DEP_3)
	v_dual_fmac_f32 v10, -0.5, v21 :: v_dual_fmamk_f32 v21, v0, 0x3f5db3d7, v9
	s_wait_loadcnt 0x0
	v_dual_fmac_f32 v9, 0xbf5db3d7, v0 :: v_dual_add_f32 v0, v11, v15
	v_lshlrev_b32_e32 v35, 3, v30
	v_dual_fmamk_f32 v23, v19, 0xbf5db3d7, v10 :: v_dual_add_f32 v20, v24, v20
	v_dual_fmac_f32 v10, 0x3f5db3d7, v19 :: v_dual_add_f32 v19, v12, v16
	s_delay_alu instid0(VALU_DEP_4) | instskip(SKIP_2) | instid1(VALU_DEP_4)
	v_dual_add_f32 v24, v13, v15 :: v_dual_fmac_f32 v13, -0.5, v0
	v_sub_f32_e32 v0, v16, v12
	v_add_f32_e32 v16, v14, v16
	v_fmac_f32_e32 v14, -0.5, v19
	s_delay_alu instid0(VALU_DEP_4) | instskip(SKIP_4) | instid1(VALU_DEP_4)
	v_dual_add_f32 v24, v11, v24 :: v_dual_and_b32 v37, 0xff, v29
	v_sub_f32_e32 v11, v15, v11
	v_fmamk_f32 v15, v0, 0x3f5db3d7, v13
	v_dual_fmac_f32 v13, 0xbf5db3d7, v0 :: v_dual_lshlrev_b32 v0, 3, v29
	v_mad_i32_i24 v33, v30, 12, 0
	v_fmamk_f32 v26, v11, 0xbf5db3d7, v14
	v_fmac_f32_e32 v14, 0x3f5db3d7, v11
	v_and_b32_e32 v11, 0xff, v30
	v_add_f32_e32 v19, v12, v16
	v_sub_nc_u32_e32 v0, v25, v0
	s_load_b64 s[2:3], s[2:3], 0x0
	v_mad_i32_i24 v34, v31, 12, 0
	ds_store_2addr_b32 v25, v5, v17 offset1:1
	ds_store_b32 v25, v6 offset:8
	ds_store_2addr_b32 v33, v22, v21 offset1:1
	ds_store_b32 v33, v9 offset:8
	;; [unrolled: 2-line block ×3, first 2 shown]
	v_add_nc_u32_e32 v6, 0x400, v0
	v_add_nc_u32_e32 v5, 0x800, v0
	v_mul_lo_u16 v21, 0xab, v37
	global_wb scope:SCOPE_SE
	s_wait_dscnt 0x0
	s_wait_kmcnt 0x0
	s_barrier_signal -1
	s_barrier_wait -1
	global_inv scope:SCOPE_SE
	ds_load_2addr_b32 v[39:40], v6 offset0:95 offset1:212
	ds_load_2addr_b32 v[55:56], v5 offset0:73 offset1:190
	v_lshlrev_b32_e32 v36, 3, v31
	v_add_nc_u32_e32 v16, 0xc00, v0
	v_and_b32_e32 v32, 0xffff, v31
	v_mul_lo_u16 v11, 0xab, v11
	v_lshrrev_b16 v27, 9, v21
	v_sub_nc_u32_e32 v15, v33, v35
	v_sub_nc_u32_e32 v17, v34, v36
	ds_load_2addr_b32 v[41:42], v16 offset0:51 offset1:168
	ds_load_b32 v13, v0
	ds_load_b32 v12, v15
	;; [unrolled: 1-line block ×3, first 2 shown]
	global_wb scope:SCOPE_SE
	s_wait_dscnt 0x0
	s_barrier_signal -1
	s_barrier_wait -1
	global_inv scope:SCOPE_SE
	ds_store_2addr_b32 v25, v8, v18 offset1:1
	ds_store_b32 v25, v7 offset:8
	v_mul_u32_u24_e32 v7, 0xaaab, v32
	v_lshrrev_b16 v18, 9, v11
	v_mul_lo_u16 v8, v27, 3
	ds_store_2addr_b32 v33, v20, v23 offset1:1
	ds_store_b32 v33, v10 offset:8
	ds_store_2addr_b32 v34, v19, v26 offset1:1
	ds_store_b32 v34, v14 offset:8
	v_lshrrev_b32_e32 v20, 17, v7
	v_mul_lo_u16 v7, v18, 3
	v_sub_nc_u16 v8, v29, v8
	global_wb scope:SCOPE_SE
	s_wait_dscnt 0x0
	s_barrier_signal -1
	s_barrier_wait -1
	v_sub_nc_u16 v7, v30, v7
	v_and_b32_e32 v14, 0xff, v8
	global_inv scope:SCOPE_SE
	v_mul_lo_u16 v10, v20, 3
	v_and_b32_e32 v28, 0xffff, v18
	v_and_b32_e32 v25, 0xff, v7
	v_lshlrev_b32_e32 v7, 4, v14
	v_cmp_gt_u32_e64 s0, 0x51, v29
	v_sub_nc_u16 v8, v31, v10
	global_load_b128 v[21:24], v7, s[8:9]
	v_and_b32_e32 v26, 0xffff, v8
	s_delay_alu instid0(VALU_DEP_1)
	v_lshlrev_b32_e32 v7, 4, v26
	s_wait_loadcnt 0x0
	v_mul_f32_e32 v44, v39, v22
	v_lshlrev_b32_e32 v8, 4, v25
	s_clause 0x1
	global_load_b128 v[47:50], v8, s[8:9]
	global_load_b128 v[51:54], v7, s[8:9]
	ds_load_2addr_b32 v[7:8], v6 offset0:95 offset1:212
	ds_load_2addr_b32 v[10:11], v5 offset0:73 offset1:190
	;; [unrolled: 1-line block ×3, first 2 shown]
	v_and_b32_e32 v27, 0xffff, v27
	ds_load_b32 v19, v0
	ds_load_b32 v18, v15
	;; [unrolled: 1-line block ×3, first 2 shown]
	v_mul_u32_u24_e32 v17, 36, v20
	v_lshlrev_b32_e32 v25, 2, v25
	global_wb scope:SCOPE_SE
	s_wait_loadcnt_dscnt 0x0
	v_mul_u32_u24_e32 v20, 36, v27
	s_barrier_signal -1
	s_barrier_wait -1
	global_inv scope:SCOPE_SE
	v_dual_fmac_f32 v44, v7, v21 :: v_dual_mul_f32 v43, v40, v48
	s_delay_alu instid0(VALU_DEP_1) | instskip(NEXT) | instid1(VALU_DEP_1)
	v_dual_fmac_f32 v43, v8, v47 :: v_dual_lshlrev_b32 v14, 2, v14
	v_add3_u32 v38, 0, v20, v14
	v_mul_f32_e32 v14, v7, v22
	v_mul_f32_e32 v20, v56, v24
	;; [unrolled: 1-line block ×3, first 2 shown]
	s_delay_alu instid0(VALU_DEP_3) | instskip(NEXT) | instid1(VALU_DEP_3)
	v_fma_f32 v45, v39, v21, -v14
	v_fmac_f32_e32 v20, v11, v23
	s_delay_alu instid0(VALU_DEP_3) | instskip(NEXT) | instid1(VALU_DEP_3)
	v_fma_f32 v46, v56, v23, -v22
	v_add_f32_e32 v7, v13, v45
	v_mul_u32_u24_e32 v27, 36, v28
	s_delay_alu instid0(VALU_DEP_2) | instskip(NEXT) | instid1(VALU_DEP_2)
	v_add_f32_e32 v7, v7, v46
	v_add3_u32 v28, 0, v27, v25
	v_mul_f32_e32 v25, v42, v54
	s_delay_alu instid0(VALU_DEP_1) | instskip(NEXT) | instid1(VALU_DEP_1)
	v_dual_fmac_f32 v25, v58, v53 :: v_dual_lshlrev_b32 v26, 2, v26
	v_add3_u32 v27, 0, v17, v26
	v_dual_mul_f32 v17, v41, v50 :: v_dual_mul_f32 v26, v55, v52
	s_delay_alu instid0(VALU_DEP_1) | instskip(SKIP_1) | instid1(VALU_DEP_2)
	v_dual_fmac_f32 v17, v57, v49 :: v_dual_fmac_f32 v26, v10, v51
	v_mul_f32_e32 v24, v8, v48
	v_sub_f32_e32 v22, v43, v17
	v_add_f32_e32 v8, v45, v46
	v_mul_f32_e32 v48, v57, v50
	v_mul_f32_e32 v50, v10, v52
	;; [unrolled: 1-line block ×3, first 2 shown]
	v_fma_f32 v39, v40, v47, -v24
	v_fmac_f32_e32 v13, -0.5, v8
	v_fma_f32 v41, v41, v49, -v48
	v_fma_f32 v40, v55, v51, -v50
	;; [unrolled: 1-line block ×3, first 2 shown]
	v_add_f32_e32 v11, v12, v39
                                        ; implicit-def: $vgpr54
	s_delay_alu instid0(VALU_DEP_4) | instskip(NEXT) | instid1(VALU_DEP_3)
	v_add_f32_e32 v21, v39, v41
	v_dual_add_f32 v23, v9, v40 :: v_dual_add_f32 v24, v40, v42
	s_delay_alu instid0(VALU_DEP_3) | instskip(NEXT) | instid1(VALU_DEP_2)
	v_add_f32_e32 v14, v11, v41
	v_dual_fmac_f32 v12, -0.5, v21 :: v_dual_add_f32 v21, v23, v42
	s_delay_alu instid0(VALU_DEP_3) | instskip(SKIP_1) | instid1(VALU_DEP_3)
	v_fmac_f32_e32 v9, -0.5, v24
	v_sub_f32_e32 v47, v26, v25
                                        ; implicit-def: $vgpr24
	v_fmamk_f32 v11, v22, 0x3f5db3d7, v12
	v_fmac_f32_e32 v12, 0xbf5db3d7, v22
	s_delay_alu instid0(VALU_DEP_3) | instskip(SKIP_1) | instid1(VALU_DEP_1)
	v_fmamk_f32 v22, v47, 0x3f5db3d7, v9
	v_dual_fmac_f32 v9, 0xbf5db3d7, v47 :: v_dual_sub_f32 v10, v44, v20
	v_fmamk_f32 v8, v10, 0x3f5db3d7, v13
	v_fmac_f32_e32 v13, 0xbf5db3d7, v10
	ds_store_2addr_b32 v38, v7, v8 offset1:3
	ds_store_b32 v38, v13 offset:24
	ds_store_2addr_b32 v28, v14, v11 offset1:3
	ds_store_b32 v28, v12 offset:24
	;; [unrolled: 2-line block ×3, first 2 shown]
	global_wb scope:SCOPE_SE
	s_wait_dscnt 0x0
	s_barrier_signal -1
	s_barrier_wait -1
	global_inv scope:SCOPE_SE
	s_and_saveexec_b32 s1, s0
	s_cbranch_execz .LBB0_15
; %bb.14:
	v_add_nc_u32_e32 v21, 0x600, v0
	ds_load_2addr_b32 v[7:8], v0 offset1:81
	ds_load_2addr_b32 v[13:14], v0 offset0:162 offset1:243
	ds_load_2addr_b32 v[11:12], v6 offset0:68 offset1:149
	;; [unrolled: 1-line block ×5, first 2 shown]
	ds_load_b32 v54, v0 offset:3888
.LBB0_15:
	s_wait_alu 0xfffe
	s_or_b32 exec_lo, exec_lo, s1
	v_dual_add_f32 v5, v44, v20 :: v_dual_sub_f32 v16, v45, v46
	v_add_f32_e32 v6, v19, v44
	v_dual_add_f32 v44, v43, v17 :: v_dual_add_f32 v43, v18, v43
	s_delay_alu instid0(VALU_DEP_3) | instskip(SKIP_1) | instid1(VALU_DEP_4)
	v_fmac_f32_e32 v19, -0.5, v5
	v_add_f32_e32 v45, v26, v25
	v_add_f32_e32 v5, v6, v20
	s_delay_alu instid0(VALU_DEP_4)
	v_fmac_f32_e32 v18, -0.5, v44
	v_add_f32_e32 v26, v15, v26
	v_fmamk_f32 v6, v16, 0xbf5db3d7, v19
	v_fmac_f32_e32 v15, -0.5, v45
	v_dual_fmac_f32 v19, 0x3f5db3d7, v16 :: v_dual_sub_f32 v16, v39, v41
	v_dual_sub_f32 v39, v40, v42 :: v_dual_add_f32 v20, v43, v17
	v_add_f32_e32 v25, v26, v25
	global_wb scope:SCOPE_SE
	s_wait_dscnt 0x0
	v_dual_fmamk_f32 v17, v16, 0xbf5db3d7, v18 :: v_dual_fmamk_f32 v26, v39, 0xbf5db3d7, v15
	v_dual_fmac_f32 v18, 0x3f5db3d7, v16 :: v_dual_fmac_f32 v15, 0x3f5db3d7, v39
	s_barrier_signal -1
	s_barrier_wait -1
	global_inv scope:SCOPE_SE
	ds_store_2addr_b32 v38, v5, v6 offset1:3
	ds_store_b32 v38, v19 offset:24
	ds_store_2addr_b32 v28, v20, v17 offset1:3
	ds_store_b32 v28, v18 offset:24
	ds_store_2addr_b32 v27, v25, v26 offset1:3
	ds_store_b32 v27, v15 offset:24
	global_wb scope:SCOPE_SE
	s_wait_dscnt 0x0
	s_barrier_signal -1
	s_barrier_wait -1
	global_inv scope:SCOPE_SE
                                        ; implicit-def: $vgpr55
                                        ; implicit-def: $vgpr28
	s_and_saveexec_b32 s1, s0
	s_cbranch_execz .LBB0_17
; %bb.16:
	v_add_nc_u32_e32 v15, 0x400, v0
	v_add_nc_u32_e32 v16, 0x600, v0
	;; [unrolled: 1-line block ×4, first 2 shown]
	ds_load_2addr_b32 v[5:6], v0 offset1:81
	ds_load_2addr_b32 v[19:20], v0 offset0:162 offset1:243
	ds_load_2addr_b32 v[17:18], v15 offset0:68 offset1:149
	;; [unrolled: 1-line block ×5, first 2 shown]
	ds_load_b32 v55, v0 offset:3888
.LBB0_17:
	s_wait_alu 0xfffe
	s_or_b32 exec_lo, exec_lo, s1
	v_mul_lo_u16 v37, v37, 57
	v_sub_nc_u32_e32 v52, 0, v35
	v_sub_nc_u32_e32 v51, 0, v36
	s_delay_alu instid0(VALU_DEP_3) | instskip(NEXT) | instid1(VALU_DEP_1)
	v_lshrrev_b16 v37, 9, v37
	v_mul_lo_u16 v38, v37, 9
	s_delay_alu instid0(VALU_DEP_1) | instskip(NEXT) | instid1(VALU_DEP_1)
	v_sub_nc_u16 v38, v29, v38
	v_and_b32_e32 v80, 0xff, v38
	s_delay_alu instid0(VALU_DEP_1) | instskip(NEXT) | instid1(VALU_DEP_1)
	v_mul_u32_u24_e32 v38, 12, v80
	v_lshlrev_b32_e32 v38, 3, v38
	s_clause 0x5
	global_load_b128 v[56:59], v38, s[8:9] offset:48
	global_load_b128 v[60:63], v38, s[8:9] offset:64
	;; [unrolled: 1-line block ×6, first 2 shown]
	v_and_b32_e32 v35, 0xffff, v37
	global_wb scope:SCOPE_SE
	s_wait_loadcnt_dscnt 0x0
	s_barrier_signal -1
	s_barrier_wait -1
	global_inv scope:SCOPE_SE
	v_mul_f32_e32 v48, v13, v59
	v_mul_f32_e32 v42, v6, v57
	v_dual_mul_f32 v50, v8, v57 :: v_dual_mul_f32 v45, v19, v59
	v_mul_f32_e32 v57, v20, v61
	v_dual_mul_f32 v43, v14, v61 :: v_dual_mul_f32 v40, v11, v63
	;; [unrolled: 2-line block ×3, first 2 shown]
	v_dual_mul_f32 v38, v12, v65 :: v_dual_mul_f32 v63, v25, v67
	v_mul_f32_e32 v67, v15, v71
	v_dual_mul_f32 v65, v26, v69 :: v_dual_mul_f32 v44, v23, v75
	v_dual_mul_f32 v37, v22, v69 :: v_dual_fmac_f32 v48, v19, v58
	v_dual_mul_f32 v39, v9, v71 :: v_dual_fmac_f32 v50, v6, v56
	v_dual_mul_f32 v69, v16, v73 :: v_dual_mul_f32 v46, v54, v79
	v_dual_mul_f32 v41, v10, v73 :: v_dual_fmac_f32 v40, v17, v62
	v_dual_mul_f32 v71, v27, v75 :: v_dual_fmac_f32 v38, v18, v64
	;; [unrolled: 1-line block ×4, first 2 shown]
	v_mul_f32_e32 v75, v55, v79
	v_fma_f32 v53, v8, v56, -v42
	v_fma_f32 v49, v13, v58, -v45
	;; [unrolled: 1-line block ×3, first 2 shown]
	v_dual_fmac_f32 v43, v20, v60 :: v_dual_fmac_f32 v46, v55, v78
	v_fma_f32 v42, v11, v62, -v59
	v_fma_f32 v19, v12, v64, -v61
	;; [unrolled: 1-line block ×4, first 2 shown]
	v_fmac_f32_e32 v37, v26, v68
	v_fma_f32 v20, v9, v70, -v67
	v_fmac_f32_e32 v39, v15, v70
	v_fma_f32 v15, v10, v72, -v69
	;; [unrolled: 2-line block ×3, first 2 shown]
	v_fma_f32 v27, v24, v76, -v73
	v_fmac_f32_e32 v47, v28, v76
	v_lshlrev_b32_e32 v12, 2, v80
	v_fma_f32 v28, v54, v78, -v75
	s_and_saveexec_b32 s1, s0
	s_cbranch_execz .LBB0_19
; %bb.18:
	v_dual_sub_f32 v6, v50, v46 :: v_dual_add_f32 v9, v49, v27
	s_delay_alu instid0(VALU_DEP_2) | instskip(SKIP_1) | instid1(VALU_DEP_3)
	v_add_f32_e32 v8, v53, v28
	v_dual_sub_f32 v10, v48, v47 :: v_dual_add_f32 v11, v45, v16
	v_dual_mul_f32 v17, 0xbe750f2a, v6 :: v_dual_sub_f32 v18, v43, v44
	v_dual_add_f32 v21, v42, v15 :: v_dual_sub_f32 v22, v40, v41
	s_delay_alu instid0(VALU_DEP_3) | instskip(NEXT) | instid1(VALU_DEP_3)
	v_mul_f32_e32 v23, 0x3eedf032, v10
	v_dual_fmamk_f32 v24, v8, 0xbf788fa5, v17 :: v_dual_add_f32 v25, v19, v20
	v_fma_f32 v17, 0xbf788fa5, v8, -v17
	s_delay_alu instid0(VALU_DEP_3) | instskip(SKIP_1) | instid1(VALU_DEP_4)
	v_dual_sub_f32 v26, v38, v39 :: v_dual_fmamk_f32 v55, v9, 0x3f62ad3f, v23
	v_mul_f32_e32 v54, 0xbf29c268, v18
	v_dual_add_f32 v24, v7, v24 :: v_dual_mul_f32 v57, 0x3f52af12, v22
	v_fma_f32 v23, 0x3f62ad3f, v9, -v23
	v_dual_add_f32 v17, v7, v17 :: v_dual_add_f32 v56, v13, v14
	s_delay_alu instid0(VALU_DEP_4) | instskip(NEXT) | instid1(VALU_DEP_4)
	v_dual_fmamk_f32 v58, v11, 0xbf3f9e67, v54 :: v_dual_sub_f32 v61, v36, v37
	v_dual_add_f32 v24, v55, v24 :: v_dual_mul_f32 v55, 0xbf6f5d39, v26
	v_fma_f32 v54, 0xbf3f9e67, v11, -v54
	s_delay_alu instid0(VALU_DEP_4) | instskip(NEXT) | instid1(VALU_DEP_3)
	v_add_f32_e32 v17, v23, v17
	v_dual_fmamk_f32 v59, v21, 0x3f116cb1, v57 :: v_dual_add_f32 v24, v58, v24
	v_mul_f32_e32 v58, 0xbf29c268, v6
	s_delay_alu instid0(VALU_DEP_3) | instskip(SKIP_1) | instid1(VALU_DEP_3)
	v_dual_fmamk_f32 v60, v25, 0xbeb58ec6, v55 :: v_dual_add_f32 v17, v54, v17
	v_fma_f32 v54, 0x3f116cb1, v21, -v57
	v_dual_add_f32 v23, v59, v24 :: v_dual_fmamk_f32 v24, v8, 0xbf3f9e67, v58
	v_mul_f32_e32 v62, 0xbf52af12, v18
	v_fma_f32 v58, 0xbf3f9e67, v8, -v58
	s_delay_alu instid0(VALU_DEP_4) | instskip(NEXT) | instid1(VALU_DEP_4)
	v_add_f32_e32 v17, v54, v17
	v_add_f32_e32 v23, v60, v23
	v_dual_mul_f32 v59, 0x3f7e222b, v10 :: v_dual_add_f32 v24, v7, v24
	v_fma_f32 v54, 0xbeb58ec6, v25, -v55
	v_fmamk_f32 v55, v11, 0x3f116cb1, v62
	v_mul_f32_e32 v64, 0x3f29c268, v10
	s_delay_alu instid0(VALU_DEP_4) | instskip(SKIP_3) | instid1(VALU_DEP_4)
	v_fmamk_f32 v57, v9, 0x3df6dbef, v59
	v_mul_f32_e32 v63, 0x3f7e222b, v61
	v_add_f32_e32 v17, v54, v17
	v_fma_f32 v59, 0x3df6dbef, v9, -v59
	v_dual_mul_f32 v67, 0xbe750f2a, v18 :: v_dual_add_f32 v24, v57, v24
	v_mul_f32_e32 v57, 0x3e750f2a, v22
	v_fmamk_f32 v60, v56, 0x3df6dbef, v63
	v_fma_f32 v63, 0x3df6dbef, v56, -v63
	s_delay_alu instid0(VALU_DEP_4) | instskip(NEXT) | instid1(VALU_DEP_3)
	v_dual_fmamk_f32 v65, v9, 0xbf3f9e67, v64 :: v_dual_add_f32 v24, v55, v24
	v_dual_fmamk_f32 v54, v21, 0xbf788fa5, v57 :: v_dual_add_f32 v23, v60, v23
	v_mul_f32_e32 v55, 0x3eedf032, v26
	s_delay_alu instid0(VALU_DEP_4) | instskip(NEXT) | instid1(VALU_DEP_3)
	v_dual_mul_f32 v60, 0xbf6f5d39, v6 :: v_dual_add_f32 v17, v63, v17
	v_add_f32_e32 v24, v54, v24
	v_add_f32_e32 v58, v7, v58
	s_delay_alu instid0(VALU_DEP_4) | instskip(NEXT) | instid1(VALU_DEP_4)
	v_fmamk_f32 v54, v25, 0x3f62ad3f, v55
	v_fmamk_f32 v63, v8, 0xbeb58ec6, v60
	v_mul_f32_e32 v68, 0x3f7e222b, v26
	s_delay_alu instid0(VALU_DEP_4) | instskip(NEXT) | instid1(VALU_DEP_4)
	v_add_f32_e32 v58, v59, v58
	v_add_f32_e32 v24, v54, v24
	v_fma_f32 v59, 0x3f116cb1, v11, -v62
	v_dual_add_f32 v63, v7, v63 :: v_dual_mul_f32 v54, 0xbf6f5d39, v61
	v_fma_f32 v57, 0xbf788fa5, v21, -v57
	s_delay_alu instid0(VALU_DEP_2) | instskip(NEXT) | instid1(VALU_DEP_3)
	v_dual_add_f32 v58, v59, v58 :: v_dual_add_f32 v59, v65, v63
	v_fmamk_f32 v62, v56, 0xbeb58ec6, v54
	v_fma_f32 v54, 0xbeb58ec6, v56, -v54
	v_mul_f32_e32 v65, 0xbf7e222b, v6
	s_delay_alu instid0(VALU_DEP_4) | instskip(SKIP_3) | instid1(VALU_DEP_1)
	v_add_f32_e32 v57, v57, v58
	v_fma_f32 v58, 0xbeb58ec6, v8, -v60
	v_add_f32_e32 v24, v62, v24
	v_fma_f32 v55, 0x3f62ad3f, v25, -v55
	v_dual_mul_f32 v66, 0x3eedf032, v18 :: v_dual_add_f32 v55, v55, v57
	s_delay_alu instid0(VALU_DEP_1) | instskip(NEXT) | instid1(VALU_DEP_2)
	v_fmamk_f32 v62, v11, 0x3f62ad3f, v66
	v_dual_mul_f32 v63, 0xbf7e222b, v22 :: v_dual_add_f32 v54, v54, v55
	s_delay_alu instid0(VALU_DEP_1)
	v_dual_add_f32 v59, v62, v59 :: v_dual_fmamk_f32 v60, v21, 0x3df6dbef, v63
	v_mul_f32_e32 v62, 0x3e750f2a, v26
	v_add_f32_e32 v58, v7, v58
	v_fma_f32 v64, 0xbf3f9e67, v9, -v64
	v_fma_f32 v63, 0x3df6dbef, v21, -v63
	v_add_f32_e32 v57, v60, v59
	v_fmamk_f32 v59, v25, 0xbf788fa5, v62
	v_mul_f32_e32 v60, 0x3f52af12, v61
	s_delay_alu instid0(VALU_DEP_2) | instskip(NEXT) | instid1(VALU_DEP_2)
	v_add_f32_e32 v57, v59, v57
	v_fmamk_f32 v59, v56, 0x3f116cb1, v60
	s_delay_alu instid0(VALU_DEP_1)
	v_add_f32_e32 v55, v59, v57
	v_fma_f32 v62, 0xbf788fa5, v25, -v62
	v_fmamk_f32 v57, v8, 0x3df6dbef, v65
	v_add_f32_e32 v58, v64, v58
	v_fma_f32 v64, 0x3f62ad3f, v11, -v66
	v_mul_f32_e32 v59, 0xbe750f2a, v10
	s_delay_alu instid0(VALU_DEP_2) | instskip(NEXT) | instid1(VALU_DEP_1)
	v_dual_add_f32 v57, v7, v57 :: v_dual_add_f32 v58, v64, v58
	v_add_f32_e32 v58, v63, v58
	v_fma_f32 v63, 0x3df6dbef, v8, -v65
	v_mul_f32_e32 v65, 0x3f6f5d39, v18
	v_mul_f32_e32 v18, 0xbf7e222b, v18
	s_delay_alu instid0(VALU_DEP_4) | instskip(NEXT) | instid1(VALU_DEP_4)
	v_add_f32_e32 v58, v62, v58
	v_add_f32_e32 v62, v7, v63
	s_delay_alu instid0(VALU_DEP_4) | instskip(SKIP_2) | instid1(VALU_DEP_2)
	v_fmamk_f32 v63, v11, 0xbeb58ec6, v65
	v_fmamk_f32 v64, v9, 0xbf788fa5, v59
	v_fma_f32 v59, 0xbf788fa5, v9, -v59
	v_add_f32_e32 v57, v64, v57
	s_delay_alu instid0(VALU_DEP_2) | instskip(SKIP_2) | instid1(VALU_DEP_4)
	v_add_f32_e32 v59, v59, v62
	v_fma_f32 v60, 0x3f116cb1, v56, -v60
	v_fma_f32 v62, 0xbeb58ec6, v11, -v65
	v_dual_mul_f32 v64, 0x3eedf032, v22 :: v_dual_add_f32 v57, v63, v57
	v_mul_f32_e32 v65, 0xbf52af12, v26
	s_delay_alu instid0(VALU_DEP_3) | instskip(NEXT) | instid1(VALU_DEP_3)
	v_dual_add_f32 v58, v60, v58 :: v_dual_add_f32 v59, v62, v59
	v_fmamk_f32 v63, v21, 0x3f62ad3f, v64
	v_fma_f32 v60, 0x3f62ad3f, v21, -v64
	v_mul_f32_e32 v64, 0xbf52af12, v6
	v_fmamk_f32 v62, v25, 0x3f116cb1, v65
	s_delay_alu instid0(VALU_DEP_4) | instskip(NEXT) | instid1(VALU_DEP_4)
	v_dual_mul_f32 v6, 0xbeedf032, v6 :: v_dual_add_f32 v57, v63, v57
	v_add_f32_e32 v59, v60, v59
	v_fma_f32 v60, 0x3f116cb1, v25, -v65
	v_fmamk_f32 v65, v8, 0x3f116cb1, v64
	v_mul_f32_e32 v66, 0xbf6f5d39, v10
	s_delay_alu instid0(VALU_DEP_3) | instskip(SKIP_1) | instid1(VALU_DEP_3)
	v_dual_mul_f32 v10, 0xbf52af12, v10 :: v_dual_add_f32 v59, v60, v59
	v_fma_f32 v60, 0x3f116cb1, v8, -v64
	v_dual_add_f32 v64, v7, v65 :: v_dual_fmamk_f32 v65, v9, 0xbeb58ec6, v66
	v_fma_f32 v66, 0xbeb58ec6, v9, -v66
	s_delay_alu instid0(VALU_DEP_3) | instskip(NEXT) | instid1(VALU_DEP_1)
	v_add_f32_e32 v60, v7, v60
	v_add_f32_e32 v60, v66, v60
	v_fma_f32 v66, 0xbf788fa5, v11, -v67
	s_delay_alu instid0(VALU_DEP_1) | instskip(NEXT) | instid1(VALU_DEP_1)
	v_dual_mul_f32 v63, 0xbf29c268, v61 :: v_dual_add_f32 v60, v66, v60
	v_dual_add_f32 v57, v62, v57 :: v_dual_fmamk_f32 v62, v56, 0xbf3f9e67, v63
	v_fma_f32 v63, 0xbf3f9e67, v56, -v63
	s_delay_alu instid0(VALU_DEP_1) | instskip(SKIP_3) | instid1(VALU_DEP_2)
	v_add_f32_e32 v59, v63, v59
	v_dual_add_f32 v63, v65, v64 :: v_dual_fmamk_f32 v64, v11, 0xbf788fa5, v67
	v_mul_f32_e32 v65, 0x3f29c268, v22
	v_dual_add_f32 v67, v7, v53 :: v_dual_mul_f32 v22, 0xbf6f5d39, v22
	v_dual_add_f32 v63, v64, v63 :: v_dual_fmamk_f32 v64, v21, 0xbf3f9e67, v65
	s_delay_alu instid0(VALU_DEP_1) | instskip(SKIP_1) | instid1(VALU_DEP_2)
	v_dual_add_f32 v66, v67, v49 :: v_dual_add_f32 v63, v64, v63
	v_fmamk_f32 v64, v25, 0x3df6dbef, v68
	v_add_f32_e32 v66, v66, v45
	v_mul_f32_e32 v67, 0x3eedf032, v61
	s_delay_alu instid0(VALU_DEP_2) | instskip(NEXT) | instid1(VALU_DEP_1)
	v_dual_add_f32 v63, v64, v63 :: v_dual_add_f32 v64, v66, v42
	v_add_f32_e32 v64, v64, v19
	v_fma_f32 v65, 0xbf3f9e67, v21, -v65
	s_delay_alu instid0(VALU_DEP_2) | instskip(NEXT) | instid1(VALU_DEP_2)
	v_add_f32_e32 v64, v64, v13
	v_add_f32_e32 v60, v65, v60
	v_fma_f32 v65, 0x3df6dbef, v25, -v68
	s_delay_alu instid0(VALU_DEP_1) | instskip(SKIP_2) | instid1(VALU_DEP_2)
	v_add_f32_e32 v60, v65, v60
	v_fma_f32 v65, 0x3f62ad3f, v8, -v6
	v_fmamk_f32 v6, v8, 0x3f62ad3f, v6
	v_add_f32_e32 v8, v7, v65
	v_fma_f32 v65, 0x3f116cb1, v9, -v10
	s_delay_alu instid0(VALU_DEP_3) | instskip(NEXT) | instid1(VALU_DEP_1)
	v_dual_add_f32 v6, v7, v6 :: v_dual_fmamk_f32 v7, v9, 0x3f116cb1, v10
	v_add_f32_e32 v6, v7, v6
	s_delay_alu instid0(VALU_DEP_3) | instskip(SKIP_3) | instid1(VALU_DEP_3)
	v_dual_fmamk_f32 v7, v11, 0x3df6dbef, v18 :: v_dual_add_f32 v8, v65, v8
	v_add_f32_e32 v9, v64, v14
	v_fmamk_f32 v66, v56, 0x3f62ad3f, v67
	v_fma_f32 v67, 0x3f62ad3f, v56, -v67
	v_dual_add_f32 v6, v7, v6 :: v_dual_add_f32 v9, v9, v20
	s_delay_alu instid0(VALU_DEP_1) | instskip(NEXT) | instid1(VALU_DEP_1)
	v_add_f32_e32 v7, v9, v15
	v_add_f32_e32 v7, v7, v16
	s_delay_alu instid0(VALU_DEP_1) | instskip(SKIP_2) | instid1(VALU_DEP_3)
	v_add_f32_e32 v7, v7, v27
	v_fma_f32 v10, 0x3df6dbef, v11, -v18
	v_mul_f32_e32 v11, 0xbf29c268, v26
	v_dual_mul_f32 v18, 0xbe750f2a, v61 :: v_dual_add_f32 v7, v7, v28
	s_delay_alu instid0(VALU_DEP_3) | instskip(SKIP_3) | instid1(VALU_DEP_3)
	v_add_f32_e32 v8, v10, v8
	v_fma_f32 v10, 0xbeb58ec6, v21, -v22
	v_fmamk_f32 v9, v21, 0xbeb58ec6, v22
	v_add_f32_e32 v21, v66, v63
	v_add_f32_e32 v8, v10, v8
	v_fma_f32 v10, 0xbf3f9e67, v25, -v11
	s_delay_alu instid0(VALU_DEP_4) | instskip(SKIP_2) | instid1(VALU_DEP_4)
	v_add_f32_e32 v6, v9, v6
	v_fmamk_f32 v9, v25, 0xbf3f9e67, v11
	v_mul_u32_u24_e32 v11, 0x1d4, v35
	v_add_f32_e32 v8, v10, v8
	v_fma_f32 v10, 0xbf788fa5, v56, -v18
	s_delay_alu instid0(VALU_DEP_4) | instskip(NEXT) | instid1(VALU_DEP_2)
	v_add_f32_e32 v6, v9, v6
	v_add_f32_e32 v8, v10, v8
	v_add3_u32 v10, 0, v11, v12
	v_add_f32_e32 v11, v67, v60
	v_dual_fmamk_f32 v9, v56, 0xbf788fa5, v18 :: v_dual_add_f32 v18, v62, v57
	s_delay_alu instid0(VALU_DEP_1)
	v_add_f32_e32 v6, v9, v6
	ds_store_2addr_b32 v10, v7, v8 offset1:9
	ds_store_2addr_b32 v10, v11, v59 offset0:18 offset1:27
	ds_store_2addr_b32 v10, v58, v54 offset0:36 offset1:45
	;; [unrolled: 1-line block ×5, first 2 shown]
	ds_store_b32 v10, v6 offset:432
.LBB0_19:
	s_wait_alu 0xfffe
	s_or_b32 exec_lo, exec_lo, s1
	v_add_nc_u32_e32 v21, 0x400, v0
	v_add_nc_u32_e32 v22, 0x800, v0
	;; [unrolled: 1-line block ×5, first 2 shown]
	global_wb scope:SCOPE_SE
	s_wait_dscnt 0x0
	s_barrier_signal -1
	s_barrier_wait -1
	global_inv scope:SCOPE_SE
	ds_load_2addr_b32 v[10:11], v21 offset0:95 offset1:212
	ds_load_2addr_b32 v[8:9], v22 offset0:73 offset1:190
	;; [unrolled: 1-line block ×3, first 2 shown]
	ds_load_b32 v25, v0
	ds_load_b32 v26, v17
	;; [unrolled: 1-line block ×3, first 2 shown]
	global_wb scope:SCOPE_SE
	s_wait_dscnt 0x0
	s_barrier_signal -1
	s_barrier_wait -1
	global_inv scope:SCOPE_SE
	s_and_saveexec_b32 s1, s0
	s_cbranch_execz .LBB0_21
; %bb.20:
	v_add_f32_e32 v33, v5, v50
	v_dual_add_f32 v34, v50, v46 :: v_dual_sub_f32 v27, v49, v27
	v_sub_f32_e32 v28, v53, v28
	s_delay_alu instid0(VALU_DEP_3) | instskip(NEXT) | instid1(VALU_DEP_3)
	v_dual_add_f32 v50, v48, v47 :: v_dual_add_f32 v33, v33, v48
	v_dual_sub_f32 v19, v19, v20 :: v_dual_mul_f32 v54, 0xbf52af12, v27
	v_mul_f32_e32 v55, 0xbf6f5d39, v27
	s_delay_alu instid0(VALU_DEP_3) | instskip(SKIP_3) | instid1(VALU_DEP_4)
	v_dual_mul_f32 v48, 0xbeedf032, v28 :: v_dual_add_f32 v33, v33, v43
	v_mul_u32_u24_e32 v35, 0x1d4, v35
	v_mul_f32_e32 v56, 0xbe750f2a, v27
	v_sub_f32_e32 v16, v45, v16
	v_add_f32_e32 v33, v33, v40
	v_mul_f32_e32 v52, 0xbf6f5d39, v28
	v_add3_u32 v12, 0, v35, v12
	s_delay_alu instid0(VALU_DEP_3)
	v_dual_add_f32 v40, v40, v41 :: v_dual_add_f32 v33, v33, v38
	v_fmamk_f32 v58, v34, 0x3f62ad3f, v48
	v_fma_f32 v48, 0x3f62ad3f, v34, -v48
	v_mul_f32_e32 v57, 0x3f29c268, v27
	v_fmamk_f32 v61, v34, 0xbeb58ec6, v52
	v_add_f32_e32 v33, v33, v36
	v_dual_mul_f32 v49, 0xbf52af12, v28 :: v_dual_add_f32 v58, v5, v58
	v_mul_f32_e32 v53, 0xbf29c268, v28
	v_fma_f32 v52, 0xbeb58ec6, v34, -v52
	s_delay_alu instid0(VALU_DEP_4)
	v_add_f32_e32 v33, v33, v37
	v_add_f32_e32 v48, v5, v48
	;; [unrolled: 1-line block ×3, first 2 shown]
	v_fmamk_f32 v62, v34, 0xbf3f9e67, v53
	v_mul_f32_e32 v51, 0xbf7e222b, v28
	v_dual_mul_f32 v28, 0xbe750f2a, v28 :: v_dual_add_f32 v33, v33, v39
	v_fma_f32 v53, 0xbf3f9e67, v34, -v53
	s_delay_alu instid0(VALU_DEP_4) | instskip(NEXT) | instid1(VALU_DEP_4)
	v_add_f32_e32 v62, v5, v62
	v_fmamk_f32 v60, v34, 0x3df6dbef, v51
	v_fmamk_f32 v59, v34, 0x3f116cb1, v49
	v_fma_f32 v49, 0x3f116cb1, v34, -v49
	v_add_f32_e32 v33, v33, v41
	v_fma_f32 v51, 0x3df6dbef, v34, -v51
	v_add_f32_e32 v60, v5, v60
	v_dual_fmamk_f32 v64, v50, 0xbeb58ec6, v55 :: v_dual_add_f32 v59, v5, v59
	v_fmamk_f32 v63, v34, 0xbf788fa5, v28
	v_fma_f32 v28, 0xbf788fa5, v34, -v28
	v_dual_fmamk_f32 v34, v50, 0x3f116cb1, v54 :: v_dual_add_f32 v49, v5, v49
	v_fma_f32 v55, 0xbeb58ec6, v50, -v55
	v_add_f32_e32 v33, v33, v44
	v_fma_f32 v54, 0x3f116cb1, v50, -v54
	v_add_f32_e32 v52, v5, v52
	v_add_f32_e32 v61, v5, v61
	;; [unrolled: 1-line block ×3, first 2 shown]
	v_fmamk_f32 v55, v50, 0xbf3f9e67, v57
	v_add_f32_e32 v33, v33, v47
	v_add_f32_e32 v51, v5, v51
	;; [unrolled: 1-line block ×3, first 2 shown]
	v_dual_mul_f32 v39, 0xbf29c268, v19 :: v_dual_add_f32 v36, v36, v37
	s_delay_alu instid0(VALU_DEP_4)
	v_dual_add_f32 v33, v33, v46 :: v_dual_add_f32 v46, v64, v59
	v_add_f32_e32 v47, v5, v63
	v_dual_add_f32 v5, v5, v28 :: v_dual_add_f32 v28, v34, v58
	v_add_f32_e32 v34, v54, v48
	v_fmamk_f32 v48, v50, 0xbf788fa5, v56
	v_fma_f32 v54, 0xbf788fa5, v50, -v56
	v_fma_f32 v56, 0xbf3f9e67, v50, -v57
	v_mul_f32_e32 v57, 0x3f7e222b, v27
	s_delay_alu instid0(VALU_DEP_4) | instskip(NEXT) | instid1(VALU_DEP_3)
	v_dual_mul_f32 v27, 0x3eedf032, v27 :: v_dual_add_f32 v48, v48, v60
	v_dual_sub_f32 v13, v13, v14 :: v_dual_add_f32 v52, v56, v52
	s_delay_alu instid0(VALU_DEP_3) | instskip(NEXT) | instid1(VALU_DEP_3)
	v_fmamk_f32 v45, v50, 0x3df6dbef, v57
	v_fmamk_f32 v56, v50, 0x3f62ad3f, v27
	v_fma_f32 v27, 0x3f62ad3f, v50, -v27
	s_delay_alu instid0(VALU_DEP_3) | instskip(SKIP_4) | instid1(VALU_DEP_2)
	v_add_f32_e32 v45, v45, v62
	v_add_f32_e32 v43, v43, v44
	v_dual_add_f32 v51, v54, v51 :: v_dual_add_f32 v54, v55, v61
	v_fma_f32 v55, 0x3df6dbef, v50, -v57
	v_dual_mul_f32 v44, 0xbf7e222b, v16 :: v_dual_add_f32 v5, v27, v5
	v_dual_add_f32 v47, v56, v47 :: v_dual_add_f32 v50, v55, v53
	s_delay_alu instid0(VALU_DEP_2) | instskip(SKIP_2) | instid1(VALU_DEP_3)
	v_fmamk_f32 v53, v43, 0x3df6dbef, v44
	v_mul_f32_e32 v55, 0xbe750f2a, v16
	v_fma_f32 v27, 0x3df6dbef, v43, -v44
	v_add_f32_e32 v28, v53, v28
	s_delay_alu instid0(VALU_DEP_3) | instskip(SKIP_1) | instid1(VALU_DEP_4)
	v_fmamk_f32 v44, v43, 0xbf788fa5, v55
	v_mul_f32_e32 v53, 0x3f6f5d39, v16
	v_dual_add_f32 v27, v27, v34 :: v_dual_mul_f32 v34, 0x3eedf032, v16
	s_delay_alu instid0(VALU_DEP_3) | instskip(NEXT) | instid1(VALU_DEP_3)
	v_add_f32_e32 v44, v44, v46
	v_fmamk_f32 v46, v43, 0xbeb58ec6, v53
	s_delay_alu instid0(VALU_DEP_1) | instskip(SKIP_2) | instid1(VALU_DEP_2)
	v_add_f32_e32 v46, v46, v48
	v_mul_f32_e32 v48, 0xbf52af12, v16
	v_dual_mul_f32 v16, 0xbf29c268, v16 :: v_dual_sub_f32 v15, v42, v15
	v_fmamk_f32 v42, v43, 0x3f116cb1, v48
	s_delay_alu instid0(VALU_DEP_1) | instskip(SKIP_4) | instid1(VALU_DEP_4)
	v_add_f32_e32 v42, v42, v45
	v_fma_f32 v48, 0x3f116cb1, v43, -v48
	v_fma_f32 v53, 0xbeb58ec6, v43, -v53
	v_fmamk_f32 v45, v43, 0xbf3f9e67, v16
	v_fma_f32 v16, 0xbf3f9e67, v43, -v16
	v_add_f32_e32 v48, v48, v50
	v_fma_f32 v55, 0xbf788fa5, v43, -v55
	v_mul_f32_e32 v50, 0x3f29c268, v15
	v_add_f32_e32 v45, v45, v47
	s_delay_alu instid0(VALU_DEP_3) | instskip(SKIP_2) | instid1(VALU_DEP_1)
	v_add_f32_e32 v49, v55, v49
	v_fmamk_f32 v55, v43, 0x3f62ad3f, v34
	v_fma_f32 v34, 0x3f62ad3f, v43, -v34
	v_dual_add_f32 v34, v34, v52 :: v_dual_mul_f32 v41, 0xbf6f5d39, v15
	v_add_f32_e32 v5, v16, v5
	s_delay_alu instid0(VALU_DEP_2) | instskip(SKIP_2) | instid1(VALU_DEP_3)
	v_fmamk_f32 v43, v40, 0xbeb58ec6, v41
	v_add_f32_e32 v51, v53, v51
	v_fma_f32 v41, 0xbeb58ec6, v40, -v41
	v_add_f32_e32 v16, v43, v28
	v_fmamk_f32 v28, v40, 0xbf3f9e67, v50
	s_delay_alu instid0(VALU_DEP_1) | instskip(NEXT) | instid1(VALU_DEP_1)
	v_dual_mul_f32 v43, 0x3eedf032, v15 :: v_dual_add_f32 v28, v28, v44
	v_dual_add_f32 v53, v55, v54 :: v_dual_fmamk_f32 v44, v40, 0x3f62ad3f, v43
	s_delay_alu instid0(VALU_DEP_1) | instskip(SKIP_4) | instid1(VALU_DEP_4)
	v_dual_mul_f32 v47, 0xbf7e222b, v15 :: v_dual_add_f32 v44, v44, v46
	v_mul_f32_e32 v46, 0x3e750f2a, v15
	v_add_f32_e32 v27, v41, v27
	v_fma_f32 v41, 0xbf3f9e67, v40, -v50
	v_mul_f32_e32 v15, 0x3f52af12, v15
	v_fmamk_f32 v20, v40, 0xbf788fa5, v46
	v_fma_f32 v46, 0xbf788fa5, v40, -v46
	s_delay_alu instid0(VALU_DEP_2) | instskip(NEXT) | instid1(VALU_DEP_2)
	v_dual_add_f32 v41, v41, v49 :: v_dual_add_f32 v20, v20, v42
	v_add_f32_e32 v42, v46, v48
	v_mul_f32_e32 v46, 0x3f7e222b, v19
	v_fmamk_f32 v49, v40, 0x3df6dbef, v47
	v_fma_f32 v47, 0x3df6dbef, v40, -v47
	v_fma_f32 v43, 0x3f62ad3f, v40, -v43
	s_delay_alu instid0(VALU_DEP_2) | instskip(SKIP_3) | instid1(VALU_DEP_4)
	v_dual_add_f32 v34, v47, v34 :: v_dual_fmamk_f32 v47, v40, 0x3f116cb1, v15
	v_fma_f32 v15, 0x3f116cb1, v40, -v15
	v_fmamk_f32 v40, v38, 0xbf3f9e67, v39
	v_fma_f32 v39, 0xbf3f9e67, v38, -v39
	v_add_f32_e32 v45, v47, v45
	s_delay_alu instid0(VALU_DEP_4) | instskip(NEXT) | instid1(VALU_DEP_4)
	v_add_f32_e32 v5, v15, v5
	v_dual_add_f32 v15, v40, v16 :: v_dual_mul_f32 v16, 0xbf52af12, v19
	v_dual_fmamk_f32 v40, v38, 0x3df6dbef, v46 :: v_dual_add_f32 v49, v49, v53
	v_add_f32_e32 v27, v39, v27
	v_fma_f32 v39, 0x3df6dbef, v38, -v46
	v_mul_f32_e32 v46, 0x3e750f2a, v19
	v_add_f32_e32 v43, v43, v51
	v_fmamk_f32 v47, v38, 0x3f116cb1, v16
	v_fma_f32 v16, 0x3f116cb1, v38, -v16
	v_add_f32_e32 v28, v40, v28
	v_fmamk_f32 v40, v38, 0xbf788fa5, v46
	s_delay_alu instid0(VALU_DEP_3)
	v_add_f32_e32 v16, v16, v43
	v_mul_f32_e32 v43, 0x3eedf032, v19
	v_mul_f32_e32 v37, 0xbe750f2a, v13
	v_add_f32_e32 v39, v39, v41
	v_add_f32_e32 v41, v47, v44
	v_fma_f32 v44, 0xbf788fa5, v38, -v46
	v_fmamk_f32 v14, v38, 0x3f62ad3f, v43
	v_fma_f32 v43, 0x3f62ad3f, v38, -v43
	v_dual_mul_f32 v19, 0xbf6f5d39, v19 :: v_dual_add_f32 v40, v40, v49
	s_delay_alu instid0(VALU_DEP_4) | instskip(NEXT) | instid1(VALU_DEP_4)
	v_add_f32_e32 v34, v44, v34
	v_add_f32_e32 v14, v14, v20
	s_delay_alu instid0(VALU_DEP_4) | instskip(NEXT) | instid1(VALU_DEP_4)
	v_add_f32_e32 v20, v43, v42
	v_fmamk_f32 v44, v38, 0xbeb58ec6, v19
	v_fmamk_f32 v42, v36, 0xbf788fa5, v37
	v_mul_f32_e32 v43, 0x3eedf032, v13
	v_fma_f32 v19, 0xbeb58ec6, v38, -v19
	v_fma_f32 v37, 0xbf788fa5, v36, -v37
	s_delay_alu instid0(VALU_DEP_4) | instskip(NEXT) | instid1(VALU_DEP_4)
	v_dual_add_f32 v38, v44, v45 :: v_dual_add_f32 v15, v42, v15
	v_fmamk_f32 v42, v36, 0x3f62ad3f, v43
	s_delay_alu instid0(VALU_DEP_3) | instskip(SKIP_1) | instid1(VALU_DEP_3)
	v_dual_mul_f32 v44, 0x3f52af12, v13 :: v_dual_add_f32 v27, v37, v27
	v_fma_f32 v37, 0x3f62ad3f, v36, -v43
	v_add_f32_e32 v28, v42, v28
	s_delay_alu instid0(VALU_DEP_3) | instskip(SKIP_2) | instid1(VALU_DEP_3)
	v_fma_f32 v42, 0x3f116cb1, v36, -v44
	v_add_f32_e32 v5, v19, v5
	v_mul_f32_e32 v19, 0xbf29c268, v13
	v_dual_add_f32 v37, v37, v39 :: v_dual_add_f32 v34, v42, v34
	s_delay_alu instid0(VALU_DEP_2) | instskip(SKIP_1) | instid1(VALU_DEP_2)
	v_fmamk_f32 v43, v36, 0xbf3f9e67, v19
	v_fma_f32 v19, 0xbf3f9e67, v36, -v19
	v_add_f32_e32 v39, v43, v41
	s_delay_alu instid0(VALU_DEP_2) | instskip(SKIP_1) | instid1(VALU_DEP_2)
	v_dual_fmamk_f32 v41, v36, 0x3f116cb1, v44 :: v_dual_add_f32 v16, v19, v16
	v_mul_f32_e32 v19, 0xbf6f5d39, v13
	v_dual_mul_f32 v13, 0x3f7e222b, v13 :: v_dual_add_f32 v40, v41, v40
	s_delay_alu instid0(VALU_DEP_2) | instskip(NEXT) | instid1(VALU_DEP_2)
	v_fmamk_f32 v41, v36, 0xbeb58ec6, v19
	v_fmamk_f32 v42, v36, 0x3df6dbef, v13
	v_fma_f32 v13, 0x3df6dbef, v36, -v13
	v_fma_f32 v19, 0xbeb58ec6, v36, -v19
	s_delay_alu instid0(VALU_DEP_4) | instskip(NEXT) | instid1(VALU_DEP_4)
	v_add_f32_e32 v14, v41, v14
	v_add_f32_e32 v35, v42, v38
	s_delay_alu instid0(VALU_DEP_4) | instskip(NEXT) | instid1(VALU_DEP_4)
	v_add_f32_e32 v5, v13, v5
	v_add_f32_e32 v13, v19, v20
	ds_store_2addr_b32 v12, v33, v15 offset1:9
	ds_store_2addr_b32 v12, v28, v39 offset0:18 offset1:27
	ds_store_2addr_b32 v12, v40, v14 offset0:36 offset1:45
	;; [unrolled: 1-line block ×5, first 2 shown]
	ds_store_b32 v12, v27 offset:432
.LBB0_21:
	s_wait_alu 0xfffe
	s_or_b32 exec_lo, exec_lo, s1
	v_dual_mov_b32 v14, 0 :: v_dual_lshlrev_b32 v13, 1, v29
	v_mul_u32_u24_e32 v5, 0x8c09, v32
	global_wb scope:SCOPE_SE
	s_wait_dscnt 0x0
	s_barrier_signal -1
	s_barrier_wait -1
	v_lshlrev_b64_e32 v[12:13], 3, v[13:14]
	v_lshrrev_b32_e32 v5, 22, v5
	global_inv scope:SCOPE_SE
	v_mul_lo_u16 v5, 0x75, v5
	v_add_co_u32 v15, s0, s8, v12
	s_wait_alu 0xf1ff
	v_add_co_ci_u32_e64 v16, s0, s9, v13, s0
	s_delay_alu instid0(VALU_DEP_3) | instskip(SKIP_2) | instid1(VALU_DEP_1)
	v_sub_nc_u16 v5, v31, v5
	global_load_b128 v[32:35], v[15:16], off offset:912
	v_and_b32_e32 v5, 0xffff, v5
	v_lshlrev_b32_e32 v12, 4, v5
	global_load_b128 v[36:39], v12, s[8:9] offset:912
	ds_load_2addr_b32 v[12:13], v21 offset0:95 offset1:212
	ds_load_2addr_b32 v[19:20], v22 offset0:73 offset1:190
	;; [unrolled: 1-line block ×3, first 2 shown]
	ds_load_b32 v40, v0
	ds_load_b32 v41, v17
	;; [unrolled: 1-line block ×3, first 2 shown]
	v_add_nc_u32_e32 v43, 0x200, v0
	v_add_nc_u32_e32 v44, 0x600, v0
	global_wb scope:SCOPE_SE
	s_wait_loadcnt_dscnt 0x0
	s_barrier_signal -1
	s_barrier_wait -1
	global_inv scope:SCOPE_SE
	v_dual_mul_f32 v47, v10, v33 :: v_dual_mul_f32 v48, v20, v35
	v_lshl_add_u32 v45, v5, 2, 0
	v_mul_f32_e32 v5, v12, v33
	v_mul_f32_e32 v50, v13, v33
	v_mul_f32_e32 v49, v9, v35
	s_delay_alu instid0(VALU_DEP_4) | instskip(NEXT) | instid1(VALU_DEP_4)
	v_dual_mul_f32 v51, v27, v35 :: v_dual_add_nc_u32 v46, 0xa00, v45
	v_fma_f32 v5, v10, v32, -v5
	s_delay_alu instid0(VALU_DEP_4)
	v_fma_f32 v10, v11, v32, -v50
	v_fmac_f32_e32 v47, v12, v32
	v_mul_f32_e32 v33, v11, v33
	v_fma_f32 v9, v9, v34, -v48
	v_mul_f32_e32 v35, v6, v35
	v_fmac_f32_e32 v49, v20, v34
	v_fma_f32 v6, v6, v34, -v51
	v_dual_add_f32 v20, v40, v47 :: v_dual_fmac_f32 v33, v13, v32
	v_add_f32_e32 v11, v25, v5
	v_add_f32_e32 v12, v5, v9
	s_delay_alu instid0(VALU_DEP_4)
	v_dual_sub_f32 v50, v10, v6 :: v_dual_sub_f32 v5, v5, v9
	v_fmac_f32_e32 v35, v27, v34
	v_add_f32_e32 v32, v26, v10
	v_add_f32_e32 v34, v10, v6
	;; [unrolled: 1-line block ×4, first 2 shown]
	v_dual_mul_f32 v10, v19, v37 :: v_dual_mul_f32 v51, v28, v39
	v_dual_sub_f32 v13, v47, v49 :: v_dual_add_f32 v6, v32, v6
	v_dual_mul_f32 v39, v7, v39 :: v_dual_fmac_f32 v26, -0.5, v34
	s_delay_alu instid0(VALU_DEP_4) | instskip(NEXT) | instid1(VALU_DEP_4)
	v_fmac_f32_e32 v40, -0.5, v27
	v_fma_f32 v7, v7, v38, -v51
	v_fmac_f32_e32 v25, -0.5, v12
	v_mul_f32_e32 v37, v8, v37
	v_fma_f32 v8, v8, v36, -v10
	v_fmac_f32_e32 v39, v28, v38
	s_delay_alu instid0(VALU_DEP_2)
	v_dual_add_f32 v9, v11, v9 :: v_dual_sub_f32 v28, v8, v7
	v_fmamk_f32 v10, v13, 0x3f5db3d7, v25
	v_fmac_f32_e32 v25, 0xbf5db3d7, v13
	v_fmamk_f32 v13, v5, 0xbf5db3d7, v40
	v_dual_fmac_f32 v40, 0x3f5db3d7, v5 :: v_dual_sub_f32 v47, v33, v35
	v_add_f32_e32 v12, v24, v8
	v_fmac_f32_e32 v37, v19, v36
	v_add_f32_e32 v11, v8, v7
	s_delay_alu instid0(VALU_DEP_4) | instskip(SKIP_2) | instid1(VALU_DEP_4)
	v_fmamk_f32 v5, v47, 0x3f5db3d7, v26
	v_fmac_f32_e32 v26, 0xbf5db3d7, v47
	v_add_f32_e32 v7, v12, v7
	v_fmac_f32_e32 v24, -0.5, v11
	ds_store_2addr_b32 v0, v9, v10 offset1:117
	ds_store_2addr_b32 v43, v25, v6 offset0:106 offset1:223
	ds_store_2addr_b32 v44, v5, v26 offset0:84 offset1:201
	v_add_f32_e32 v6, v48, v35
	v_sub_f32_e32 v19, v37, v39
	v_add_f32_e32 v33, v33, v35
	v_add_f32_e32 v11, v37, v39
	;; [unrolled: 1-line block ×3, first 2 shown]
	s_delay_alu instid0(VALU_DEP_4) | instskip(NEXT) | instid1(VALU_DEP_4)
	v_dual_add_f32 v27, v42, v37 :: v_dual_fmamk_f32 v8, v19, 0x3f5db3d7, v24
	v_dual_fmac_f32 v24, 0xbf5db3d7, v19 :: v_dual_fmac_f32 v41, -0.5, v33
	s_delay_alu instid0(VALU_DEP_4)
	v_fmac_f32_e32 v42, -0.5, v11
	ds_store_2addr_b32 v46, v7, v8 offset0:62 offset1:179
	ds_store_b32 v45, v24 offset:3744
	global_wb scope:SCOPE_SE
	s_wait_dscnt 0x0
	s_barrier_signal -1
	s_barrier_wait -1
	global_inv scope:SCOPE_SE
	ds_load_2addr_b32 v[7:8], v21 offset0:95 offset1:212
	ds_load_2addr_b32 v[11:12], v22 offset0:73 offset1:190
	;; [unrolled: 1-line block ×3, first 2 shown]
	ds_load_b32 v20, v0
	ds_load_b32 v19, v17
	;; [unrolled: 1-line block ×3, first 2 shown]
	v_fmamk_f32 v21, v50, 0xbf5db3d7, v41
	v_dual_fmac_f32 v41, 0x3f5db3d7, v50 :: v_dual_add_f32 v22, v27, v39
	v_fmamk_f32 v23, v28, 0xbf5db3d7, v42
	v_fmac_f32_e32 v42, 0x3f5db3d7, v28
	global_wb scope:SCOPE_SE
	s_wait_dscnt 0x0
	s_barrier_signal -1
	s_barrier_wait -1
	global_inv scope:SCOPE_SE
	ds_store_2addr_b32 v0, v49, v13 offset1:117
	ds_store_2addr_b32 v43, v40, v6 offset0:106 offset1:223
	ds_store_2addr_b32 v44, v21, v41 offset0:84 offset1:201
	ds_store_2addr_b32 v46, v22, v23 offset0:62 offset1:179
	ds_store_b32 v45, v42 offset:3744
	global_wb scope:SCOPE_SE
	s_wait_dscnt 0x0
	s_barrier_signal -1
	s_barrier_wait -1
	global_inv scope:SCOPE_SE
	s_and_saveexec_b32 s0, vcc_lo
	s_cbranch_execz .LBB0_23
; %bb.22:
	global_load_b128 v[21:24], v[15:16], off offset:2784
	v_lshlrev_b32_e32 v13, 1, v31
	v_add_nc_u32_e32 v34, 0x75, v29
	v_mul_lo_u32 v31, s2, v4
	v_add_nc_u32_e32 v33, 0xc00, v0
	v_add_nc_u32_e32 v36, 0x800, v0
	v_lshlrev_b64_e32 v[15:16], 3, v[13:14]
	v_lshlrev_b32_e32 v13, 1, v30
	v_mul_hi_u32 v38, 0x756cac21, v34
	v_mul_lo_u32 v30, s3, v3
	v_mad_co_u64_u32 v[3:4], null, s2, v3, 0
	v_add_co_u32 v15, vcc_lo, s8, v15
	s_wait_alu 0xfffd
	v_add_co_ci_u32_e32 v16, vcc_lo, s9, v16, vcc_lo
	v_lshlrev_b64_e32 v[25:26], 3, v[13:14]
	v_add_nc_u32_e32 v37, 0x400, v0
	v_add3_u32 v4, v4, v31, v30
	global_load_b128 v[13:16], v[15:16], off offset:2784
	v_mul_hi_u32 v32, 0x756cac21, v29
	v_add_nc_u32_e32 v35, 0xea, v29
	v_add_co_u32 v25, vcc_lo, s8, v25
	s_wait_alu 0xfffd
	v_add_co_ci_u32_e32 v26, vcc_lo, s9, v26, vcc_lo
	s_delay_alu instid0(VALU_DEP_3)
	v_mul_hi_u32 v40, 0x756cac21, v35
	v_sub_nc_u32_e32 v39, v29, v32
	global_load_b128 v[25:28], v[25:26], off offset:2784
	ds_load_b32 v6, v18
	ds_load_b32 v55, v17
	ds_load_b32 v56, v0
	v_lshlrev_b64_e32 v[0:1], 3, v[1:2]
	v_sub_nc_u32_e32 v2, v34, v38
	ds_load_2addr_b32 v[30:31], v36 offset0:73 offset1:190
	v_lshrrev_b32_e32 v39, 1, v39
	ds_load_2addr_b32 v[17:18], v33 offset0:51 offset1:168
	v_sub_nc_u32_e32 v33, v35, v40
	v_lshrrev_b32_e32 v36, 1, v2
	v_lshlrev_b64_e32 v[2:3], 3, v[3:4]
	v_add_nc_u32_e32 v32, v39, v32
	s_delay_alu instid0(VALU_DEP_4) | instskip(NEXT) | instid1(VALU_DEP_4)
	v_lshrrev_b32_e32 v39, 1, v33
	v_add_nc_u32_e32 v4, v36, v38
	s_delay_alu instid0(VALU_DEP_4) | instskip(SKIP_2) | instid1(VALU_DEP_3)
	v_add_co_u32 v2, vcc_lo, s6, v2
	s_wait_alu 0xfffd
	v_add_co_ci_u32_e32 v3, vcc_lo, s7, v3, vcc_lo
	v_lshrrev_b32_e32 v4, 8, v4
	s_delay_alu instid0(VALU_DEP_3)
	v_add_co_u32 v57, vcc_lo, v2, v0
	v_lshrrev_b32_e32 v41, 8, v32
	ds_load_2addr_b32 v[32:33], v37 offset0:95 offset1:212
	v_mul_u32_u24_e32 v2, 0x15f, v4
	s_wait_alu 0xfffd
	v_add_co_ci_u32_e32 v58, vcc_lo, v3, v1, vcc_lo
	v_mul_u32_u24_e32 v37, 0x15f, v41
	s_delay_alu instid0(VALU_DEP_3) | instskip(NEXT) | instid1(VALU_DEP_2)
	v_sub_nc_u32_e32 v34, v34, v2
	v_sub_nc_u32_e32 v29, v29, v37
	s_delay_alu instid0(VALU_DEP_2) | instskip(NEXT) | instid1(VALU_DEP_2)
	v_mad_u32_u24 v52, 0x41d, v4, v34
	v_add_nc_u32_e32 v49, 0x15f, v29
	v_mad_co_u64_u32 v[0:1], null, s16, v29, 0
	s_delay_alu instid0(VALU_DEP_3) | instskip(SKIP_1) | instid1(VALU_DEP_2)
	v_add_nc_u32_e32 v59, 0x2be, v52
	v_add_nc_u32_e32 v51, 0x2be, v29
	v_mad_co_u64_u32 v[43:44], null, s16, v59, 0
	v_add_nc_u32_e32 v36, v39, v40
	s_delay_alu instid0(VALU_DEP_1) | instskip(NEXT) | instid1(VALU_DEP_1)
	v_lshrrev_b32_e32 v36, 8, v36
	v_mul_u32_u24_e32 v3, 0x15f, v36
	s_delay_alu instid0(VALU_DEP_1) | instskip(SKIP_2) | instid1(VALU_DEP_3)
	v_sub_nc_u32_e32 v37, v35, v3
	v_mad_co_u64_u32 v[2:3], null, s16, v49, 0
	v_mad_co_u64_u32 v[34:35], null, s16, v51, 0
	v_mad_u32_u24 v53, 0x41d, v36, v37
	v_mad_co_u64_u32 v[36:37], null, s16, v52, 0
	s_delay_alu instid0(VALU_DEP_4)
	v_mad_co_u64_u32 v[40:41], null, s17, v29, v[1:2]
	v_mov_b32_e32 v29, v44
	v_mov_b32_e32 v1, v3
	v_add_nc_u32_e32 v61, 0x2be, v53
	v_mad_co_u64_u32 v[38:39], null, s16, v53, 0
	v_mov_b32_e32 v4, v37
	s_delay_alu instid0(VALU_DEP_4) | instskip(SKIP_3) | instid1(VALU_DEP_3)
	v_mad_co_u64_u32 v[49:50], null, s17, v49, v[1:2]
	v_dual_mov_b32 v3, v35 :: v_dual_add_nc_u32 v60, 0x15f, v53
	v_mad_co_u64_u32 v[47:48], null, s16, v61, 0
	v_mov_b32_e32 v1, v40
	v_mad_co_u64_u32 v[45:46], null, s16, v60, 0
	v_add_nc_u32_e32 v54, 0x15f, v52
	v_mad_co_u64_u32 v[50:51], null, s17, v51, v[3:4]
	v_mov_b32_e32 v3, v39
	v_mad_co_u64_u32 v[39:40], null, s17, v52, v[4:5]
	v_mov_b32_e32 v37, v46
	v_mad_co_u64_u32 v[41:42], null, s16, v54, 0
	v_dual_mov_b32 v40, v48 :: v_dual_mov_b32 v35, v50
	v_lshlrev_b64_e32 v[0:1], 3, v[0:1]
	s_delay_alu instid0(VALU_DEP_3) | instskip(NEXT) | instid1(VALU_DEP_2)
	v_mov_b32_e32 v4, v42
	v_add_co_u32 v0, vcc_lo, v57, v0
	s_wait_alu 0xfffd
	s_delay_alu instid0(VALU_DEP_3) | instskip(NEXT) | instid1(VALU_DEP_3)
	v_add_co_ci_u32_e32 v1, vcc_lo, v58, v1, vcc_lo
	v_mad_co_u64_u32 v[51:52], null, s17, v53, v[3:4]
	v_mov_b32_e32 v3, v49
	v_mad_co_u64_u32 v[48:49], null, s17, v54, v[4:5]
	v_mad_co_u64_u32 v[52:53], null, s17, v60, v[37:38]
	;; [unrolled: 1-line block ×3, first 2 shown]
	s_delay_alu instid0(VALU_DEP_4) | instskip(NEXT) | instid1(VALU_DEP_4)
	v_lshlrev_b64_e32 v[2:3], 3, v[2:3]
	v_mov_b32_e32 v42, v48
	s_delay_alu instid0(VALU_DEP_4) | instskip(NEXT) | instid1(VALU_DEP_4)
	v_mov_b32_e32 v46, v52
	v_mov_b32_e32 v48, v53
	s_delay_alu instid0(VALU_DEP_3)
	v_lshlrev_b64_e32 v[40:41], 3, v[41:42]
	v_add_co_u32 v2, vcc_lo, v57, v2
	s_wait_alu 0xfffd
	v_add_co_ci_u32_e32 v3, vcc_lo, v58, v3, vcc_lo
	s_wait_loadcnt_dscnt 0x200
	v_mul_f32_e32 v4, v32, v22
	v_mad_co_u64_u32 v[49:50], null, s17, v59, v[29:30]
	s_delay_alu instid0(VALU_DEP_2) | instskip(NEXT) | instid1(VALU_DEP_2)
	v_fma_f32 v4, v7, v21, -v4
	v_dual_mov_b32 v44, v49 :: v_dual_mul_f32 v49, v12, v24
	s_delay_alu instid0(VALU_DEP_1) | instskip(SKIP_3) | instid1(VALU_DEP_1)
	v_lshlrev_b64_e32 v[42:43], 3, v[43:44]
	v_lshlrev_b64_e32 v[44:45], 3, v[45:46]
	;; [unrolled: 1-line block ×3, first 2 shown]
	v_mul_f32_e32 v48, v7, v22
	v_dual_fmac_f32 v49, v23, v31 :: v_dual_fmac_f32 v48, v21, v32
	v_mul_f32_e32 v29, v31, v24
	v_lshlrev_b64_e32 v[34:35], 3, v[34:35]
	s_delay_alu instid0(VALU_DEP_3) | instskip(NEXT) | instid1(VALU_DEP_3)
	v_add_f32_e32 v31, v48, v56
	v_fma_f32 v7, v12, v23, -v29
	v_mov_b32_e32 v37, v39
	v_mov_b32_e32 v39, v51
	v_add_co_u32 v34, vcc_lo, v57, v34
	s_delay_alu instid0(VALU_DEP_4) | instskip(NEXT) | instid1(VALU_DEP_4)
	v_sub_f32_e32 v12, v4, v7
	v_lshlrev_b64_e32 v[36:37], 3, v[36:37]
	v_add_f32_e32 v29, v4, v7
	v_add_f32_e32 v4, v20, v4
	v_lshlrev_b64_e32 v[38:39], 3, v[38:39]
	s_wait_alu 0xfffd
	v_add_co_ci_u32_e32 v35, vcc_lo, v58, v35, vcc_lo
	v_add_co_u32 v36, vcc_lo, v57, v36
	s_wait_alu 0xfffd
	v_add_co_ci_u32_e32 v37, vcc_lo, v58, v37, vcc_lo
	v_add_co_u32 v38, vcc_lo, v57, v38
	s_wait_alu 0xfffd
	v_add_co_ci_u32_e32 v39, vcc_lo, v58, v39, vcc_lo
	v_add_co_u32 v40, vcc_lo, v57, v40
	v_add_f32_e32 v32, v49, v31
	s_wait_loadcnt 0x1
	v_dual_add_f32 v31, v4, v7 :: v_dual_mul_f32 v4, v10, v16
	v_dual_add_f32 v23, v48, v49 :: v_dual_mul_f32 v16, v18, v16
	v_mul_f32_e32 v7, v11, v14
	v_mul_f32_e32 v14, v30, v14
	s_wait_alu 0xfffd
	v_add_co_ci_u32_e32 v41, vcc_lo, v58, v41, vcc_lo
	v_add_co_u32 v42, vcc_lo, v57, v42
	s_wait_alu 0xfffd
	v_add_co_ci_u32_e32 v43, vcc_lo, v58, v43, vcc_lo
	v_add_co_u32 v44, vcc_lo, v57, v44
	v_fma_f32 v24, -0.5, v23, v56
	global_store_b64 v[0:1], v[31:32], off
	v_fma_f32 v0, v11, v13, -v14
	v_fma_f32 v10, v10, v15, -v16
	s_wait_alu 0xfffd
	v_add_co_ci_u32_e32 v45, vcc_lo, v58, v45, vcc_lo
	v_add_co_u32 v21, vcc_lo, v57, v46
	s_wait_alu 0xfffd
	v_add_co_ci_u32_e32 v22, vcc_lo, v58, v47, vcc_lo
	v_sub_f32_e32 v48, v48, v49
	v_dual_fmac_f32 v7, v30, v13 :: v_dual_sub_f32 v14, v0, v10
	v_fmamk_f32 v47, v12, 0x3f5db3d7, v24
	v_fmac_f32_e32 v24, 0xbf5db3d7, v12
	v_fma_f32 v23, -0.5, v29, v20
	s_wait_loadcnt 0x0
	v_dual_fmac_f32 v4, v18, v15 :: v_dual_mul_f32 v1, v33, v26
	v_mul_f32_e32 v12, v8, v26
	v_add_f32_e32 v16, v10, v0
	v_fmamk_f32 v46, v48, 0xbf5db3d7, v23
	v_fmac_f32_e32 v23, 0x3f5db3d7, v48
	s_clause 0x1
	global_store_b64 v[2:3], v[23:24], off
	global_store_b64 v[34:35], v[46:47], off
	v_add_f32_e32 v2, v6, v7
	v_dual_add_f32 v15, v4, v7 :: v_dual_sub_f32 v18, v7, v4
	v_mul_f32_e32 v13, v9, v28
	v_fma_f32 v7, v8, v25, -v1
	v_add_f32_e32 v3, v5, v0
	v_mul_f32_e32 v11, v17, v28
	v_dual_fmac_f32 v12, v25, v33 :: v_dual_add_f32 v1, v4, v2
	v_dual_fmac_f32 v6, -0.5, v15 :: v_dual_fmac_f32 v13, v27, v17
	s_delay_alu instid0(VALU_DEP_4) | instskip(NEXT) | instid1(VALU_DEP_3)
	v_add_f32_e32 v0, v10, v3
	v_add_f32_e32 v10, v12, v55
	v_fma_f32 v9, v9, v27, -v11
	s_delay_alu instid0(VALU_DEP_4) | instskip(NEXT) | instid1(VALU_DEP_3)
	v_dual_fmac_f32 v5, -0.5, v16 :: v_dual_add_f32 v2, v12, v13
	v_dual_sub_f32 v15, v12, v13 :: v_dual_add_f32 v10, v13, v10
	s_delay_alu instid0(VALU_DEP_3) | instskip(NEXT) | instid1(VALU_DEP_3)
	v_sub_f32_e32 v4, v7, v9
	v_fma_f32 v3, -0.5, v2, v55
	v_add_f32_e32 v8, v7, v9
	s_delay_alu instid0(VALU_DEP_2) | instskip(SKIP_1) | instid1(VALU_DEP_3)
	v_dual_add_f32 v7, v19, v7 :: v_dual_fmamk_f32 v12, v4, 0x3f5db3d7, v3
	v_fmac_f32_e32 v3, 0xbf5db3d7, v4
	v_fma_f32 v2, -0.5, v8, v19
	s_delay_alu instid0(VALU_DEP_3) | instskip(SKIP_1) | instid1(VALU_DEP_3)
	v_dual_add_f32 v9, v7, v9 :: v_dual_fmamk_f32 v8, v14, 0x3f5db3d7, v6
	v_dual_fmac_f32 v6, 0xbf5db3d7, v14 :: v_dual_fmamk_f32 v7, v18, 0xbf5db3d7, v5
	v_fmamk_f32 v11, v15, 0xbf5db3d7, v2
	v_dual_fmac_f32 v2, 0x3f5db3d7, v15 :: v_dual_fmac_f32 v5, 0x3f5db3d7, v18
	s_clause 0x5
	global_store_b64 v[36:37], v[9:10], off
	global_store_b64 v[40:41], v[2:3], off
	global_store_b64 v[42:43], v[11:12], off
	global_store_b64 v[38:39], v[0:1], off
	global_store_b64 v[44:45], v[5:6], off
	global_store_b64 v[21:22], v[7:8], off
.LBB0_23:
	s_nop 0
	s_sendmsg sendmsg(MSG_DEALLOC_VGPRS)
	s_endpgm
	.section	.rodata,"a",@progbits
	.p2align	6, 0x0
	.amdhsa_kernel fft_rtc_fwd_len1053_factors_3_3_13_3_3_wgs_117_tpt_117_halfLds_sp_op_CI_CI_sbrr_dirReg
		.amdhsa_group_segment_fixed_size 0
		.amdhsa_private_segment_fixed_size 0
		.amdhsa_kernarg_size 104
		.amdhsa_user_sgpr_count 2
		.amdhsa_user_sgpr_dispatch_ptr 0
		.amdhsa_user_sgpr_queue_ptr 0
		.amdhsa_user_sgpr_kernarg_segment_ptr 1
		.amdhsa_user_sgpr_dispatch_id 0
		.amdhsa_user_sgpr_private_segment_size 0
		.amdhsa_wavefront_size32 1
		.amdhsa_uses_dynamic_stack 0
		.amdhsa_enable_private_segment 0
		.amdhsa_system_sgpr_workgroup_id_x 1
		.amdhsa_system_sgpr_workgroup_id_y 0
		.amdhsa_system_sgpr_workgroup_id_z 0
		.amdhsa_system_sgpr_workgroup_info 0
		.amdhsa_system_vgpr_workitem_id 0
		.amdhsa_next_free_vgpr 81
		.amdhsa_next_free_sgpr 43
		.amdhsa_reserve_vcc 1
		.amdhsa_float_round_mode_32 0
		.amdhsa_float_round_mode_16_64 0
		.amdhsa_float_denorm_mode_32 3
		.amdhsa_float_denorm_mode_16_64 3
		.amdhsa_fp16_overflow 0
		.amdhsa_workgroup_processor_mode 1
		.amdhsa_memory_ordered 1
		.amdhsa_forward_progress 0
		.amdhsa_round_robin_scheduling 0
		.amdhsa_exception_fp_ieee_invalid_op 0
		.amdhsa_exception_fp_denorm_src 0
		.amdhsa_exception_fp_ieee_div_zero 0
		.amdhsa_exception_fp_ieee_overflow 0
		.amdhsa_exception_fp_ieee_underflow 0
		.amdhsa_exception_fp_ieee_inexact 0
		.amdhsa_exception_int_div_zero 0
	.end_amdhsa_kernel
	.text
.Lfunc_end0:
	.size	fft_rtc_fwd_len1053_factors_3_3_13_3_3_wgs_117_tpt_117_halfLds_sp_op_CI_CI_sbrr_dirReg, .Lfunc_end0-fft_rtc_fwd_len1053_factors_3_3_13_3_3_wgs_117_tpt_117_halfLds_sp_op_CI_CI_sbrr_dirReg
                                        ; -- End function
	.section	.AMDGPU.csdata,"",@progbits
; Kernel info:
; codeLenInByte = 9952
; NumSgprs: 45
; NumVgprs: 81
; ScratchSize: 0
; MemoryBound: 0
; FloatMode: 240
; IeeeMode: 1
; LDSByteSize: 0 bytes/workgroup (compile time only)
; SGPRBlocks: 5
; VGPRBlocks: 10
; NumSGPRsForWavesPerEU: 45
; NumVGPRsForWavesPerEU: 81
; Occupancy: 16
; WaveLimiterHint : 1
; COMPUTE_PGM_RSRC2:SCRATCH_EN: 0
; COMPUTE_PGM_RSRC2:USER_SGPR: 2
; COMPUTE_PGM_RSRC2:TRAP_HANDLER: 0
; COMPUTE_PGM_RSRC2:TGID_X_EN: 1
; COMPUTE_PGM_RSRC2:TGID_Y_EN: 0
; COMPUTE_PGM_RSRC2:TGID_Z_EN: 0
; COMPUTE_PGM_RSRC2:TIDIG_COMP_CNT: 0
	.text
	.p2alignl 7, 3214868480
	.fill 96, 4, 3214868480
	.type	__hip_cuid_f6d6ac420253e539,@object ; @__hip_cuid_f6d6ac420253e539
	.section	.bss,"aw",@nobits
	.globl	__hip_cuid_f6d6ac420253e539
__hip_cuid_f6d6ac420253e539:
	.byte	0                               ; 0x0
	.size	__hip_cuid_f6d6ac420253e539, 1

	.ident	"AMD clang version 19.0.0git (https://github.com/RadeonOpenCompute/llvm-project roc-6.4.0 25133 c7fe45cf4b819c5991fe208aaa96edf142730f1d)"
	.section	".note.GNU-stack","",@progbits
	.addrsig
	.addrsig_sym __hip_cuid_f6d6ac420253e539
	.amdgpu_metadata
---
amdhsa.kernels:
  - .args:
      - .actual_access:  read_only
        .address_space:  global
        .offset:         0
        .size:           8
        .value_kind:     global_buffer
      - .offset:         8
        .size:           8
        .value_kind:     by_value
      - .actual_access:  read_only
        .address_space:  global
        .offset:         16
        .size:           8
        .value_kind:     global_buffer
      - .actual_access:  read_only
        .address_space:  global
        .offset:         24
        .size:           8
        .value_kind:     global_buffer
      - .actual_access:  read_only
        .address_space:  global
        .offset:         32
        .size:           8
        .value_kind:     global_buffer
      - .offset:         40
        .size:           8
        .value_kind:     by_value
      - .actual_access:  read_only
        .address_space:  global
        .offset:         48
        .size:           8
        .value_kind:     global_buffer
      - .actual_access:  read_only
        .address_space:  global
        .offset:         56
        .size:           8
        .value_kind:     global_buffer
      - .offset:         64
        .size:           4
        .value_kind:     by_value
      - .actual_access:  read_only
        .address_space:  global
        .offset:         72
        .size:           8
        .value_kind:     global_buffer
      - .actual_access:  read_only
        .address_space:  global
        .offset:         80
        .size:           8
        .value_kind:     global_buffer
      - .actual_access:  read_only
        .address_space:  global
        .offset:         88
        .size:           8
        .value_kind:     global_buffer
      - .actual_access:  write_only
        .address_space:  global
        .offset:         96
        .size:           8
        .value_kind:     global_buffer
    .group_segment_fixed_size: 0
    .kernarg_segment_align: 8
    .kernarg_segment_size: 104
    .language:       OpenCL C
    .language_version:
      - 2
      - 0
    .max_flat_workgroup_size: 117
    .name:           fft_rtc_fwd_len1053_factors_3_3_13_3_3_wgs_117_tpt_117_halfLds_sp_op_CI_CI_sbrr_dirReg
    .private_segment_fixed_size: 0
    .sgpr_count:     45
    .sgpr_spill_count: 0
    .symbol:         fft_rtc_fwd_len1053_factors_3_3_13_3_3_wgs_117_tpt_117_halfLds_sp_op_CI_CI_sbrr_dirReg.kd
    .uniform_work_group_size: 1
    .uses_dynamic_stack: false
    .vgpr_count:     81
    .vgpr_spill_count: 0
    .wavefront_size: 32
    .workgroup_processor_mode: 1
amdhsa.target:   amdgcn-amd-amdhsa--gfx1201
amdhsa.version:
  - 1
  - 2
...

	.end_amdgpu_metadata
